;; amdgpu-corpus repo=ROCm/rocFFT kind=compiled arch=gfx906 opt=O3
	.text
	.amdgcn_target "amdgcn-amd-amdhsa--gfx906"
	.amdhsa_code_object_version 6
	.protected	fft_rtc_fwd_len1309_factors_17_7_11_wgs_119_tpt_119_halfLds_half_ip_CI_sbrr_dirReg ; -- Begin function fft_rtc_fwd_len1309_factors_17_7_11_wgs_119_tpt_119_halfLds_half_ip_CI_sbrr_dirReg
	.globl	fft_rtc_fwd_len1309_factors_17_7_11_wgs_119_tpt_119_halfLds_half_ip_CI_sbrr_dirReg
	.p2align	8
	.type	fft_rtc_fwd_len1309_factors_17_7_11_wgs_119_tpt_119_halfLds_half_ip_CI_sbrr_dirReg,@function
fft_rtc_fwd_len1309_factors_17_7_11_wgs_119_tpt_119_halfLds_half_ip_CI_sbrr_dirReg: ; @fft_rtc_fwd_len1309_factors_17_7_11_wgs_119_tpt_119_halfLds_half_ip_CI_sbrr_dirReg
; %bb.0:
	s_load_dwordx2 s[2:3], s[4:5], 0x18
	s_load_dwordx4 s[8:11], s[4:5], 0x0
	s_load_dwordx2 s[14:15], s[4:5], 0x50
	v_mul_u32_u24_e32 v1, 0x227, v0
	v_add_u32_sdwa v5, s6, v1 dst_sel:DWORD dst_unused:UNUSED_PAD src0_sel:DWORD src1_sel:WORD_1
	s_waitcnt lgkmcnt(0)
	s_load_dwordx2 s[12:13], s[2:3], 0x0
	v_cmp_lt_u64_e64 s[0:1], s[10:11], 2
	v_mov_b32_e32 v3, 0
	v_mov_b32_e32 v1, 0
	;; [unrolled: 1-line block ×3, first 2 shown]
	s_and_b64 vcc, exec, s[0:1]
	v_mov_b32_e32 v2, 0
	s_cbranch_vccnz .LBB0_8
; %bb.1:
	s_load_dwordx2 s[0:1], s[4:5], 0x10
	s_add_u32 s6, s2, 8
	s_addc_u32 s7, s3, 0
	v_mov_b32_e32 v1, 0
	v_mov_b32_e32 v2, 0
	s_waitcnt lgkmcnt(0)
	s_add_u32 s16, s0, 8
	s_addc_u32 s17, s1, 0
	s_mov_b64 s[18:19], 1
.LBB0_2:                                ; =>This Inner Loop Header: Depth=1
	s_load_dwordx2 s[20:21], s[16:17], 0x0
                                        ; implicit-def: $vgpr10_vgpr11
	s_waitcnt lgkmcnt(0)
	v_or_b32_e32 v4, s21, v6
	v_cmp_ne_u64_e32 vcc, 0, v[3:4]
	s_and_saveexec_b64 s[0:1], vcc
	s_xor_b64 s[22:23], exec, s[0:1]
	s_cbranch_execz .LBB0_4
; %bb.3:                                ;   in Loop: Header=BB0_2 Depth=1
	v_cvt_f32_u32_e32 v4, s20
	v_cvt_f32_u32_e32 v7, s21
	s_sub_u32 s0, 0, s20
	s_subb_u32 s1, 0, s21
	v_mac_f32_e32 v4, 0x4f800000, v7
	v_rcp_f32_e32 v4, v4
	v_mul_f32_e32 v4, 0x5f7ffffc, v4
	v_mul_f32_e32 v7, 0x2f800000, v4
	v_trunc_f32_e32 v7, v7
	v_mac_f32_e32 v4, 0xcf800000, v7
	v_cvt_u32_f32_e32 v7, v7
	v_cvt_u32_f32_e32 v4, v4
	v_mul_lo_u32 v8, s0, v7
	v_mul_hi_u32 v9, s0, v4
	v_mul_lo_u32 v11, s1, v4
	v_mul_lo_u32 v10, s0, v4
	v_add_u32_e32 v8, v9, v8
	v_add_u32_e32 v8, v8, v11
	v_mul_hi_u32 v9, v4, v10
	v_mul_lo_u32 v11, v4, v8
	v_mul_hi_u32 v13, v4, v8
	v_mul_hi_u32 v12, v7, v10
	v_mul_lo_u32 v10, v7, v10
	v_mul_hi_u32 v14, v7, v8
	v_add_co_u32_e32 v9, vcc, v9, v11
	v_addc_co_u32_e32 v11, vcc, 0, v13, vcc
	v_mul_lo_u32 v8, v7, v8
	v_add_co_u32_e32 v9, vcc, v9, v10
	v_addc_co_u32_e32 v9, vcc, v11, v12, vcc
	v_addc_co_u32_e32 v10, vcc, 0, v14, vcc
	v_add_co_u32_e32 v8, vcc, v9, v8
	v_addc_co_u32_e32 v9, vcc, 0, v10, vcc
	v_add_co_u32_e32 v4, vcc, v4, v8
	v_addc_co_u32_e32 v7, vcc, v7, v9, vcc
	v_mul_lo_u32 v8, s0, v7
	v_mul_hi_u32 v9, s0, v4
	v_mul_lo_u32 v10, s1, v4
	v_mul_lo_u32 v11, s0, v4
	v_add_u32_e32 v8, v9, v8
	v_add_u32_e32 v8, v8, v10
	v_mul_lo_u32 v12, v4, v8
	v_mul_hi_u32 v13, v4, v11
	v_mul_hi_u32 v14, v4, v8
	;; [unrolled: 1-line block ×3, first 2 shown]
	v_mul_lo_u32 v11, v7, v11
	v_mul_hi_u32 v9, v7, v8
	v_add_co_u32_e32 v12, vcc, v13, v12
	v_addc_co_u32_e32 v13, vcc, 0, v14, vcc
	v_mul_lo_u32 v8, v7, v8
	v_add_co_u32_e32 v11, vcc, v12, v11
	v_addc_co_u32_e32 v10, vcc, v13, v10, vcc
	v_addc_co_u32_e32 v9, vcc, 0, v9, vcc
	v_add_co_u32_e32 v8, vcc, v10, v8
	v_addc_co_u32_e32 v9, vcc, 0, v9, vcc
	v_add_co_u32_e32 v4, vcc, v4, v8
	v_addc_co_u32_e32 v9, vcc, v7, v9, vcc
	v_mad_u64_u32 v[7:8], s[0:1], v5, v9, 0
	v_mul_hi_u32 v10, v5, v4
	v_add_co_u32_e32 v11, vcc, v10, v7
	v_addc_co_u32_e32 v12, vcc, 0, v8, vcc
	v_mad_u64_u32 v[7:8], s[0:1], v6, v4, 0
	v_mad_u64_u32 v[9:10], s[0:1], v6, v9, 0
	v_add_co_u32_e32 v4, vcc, v11, v7
	v_addc_co_u32_e32 v4, vcc, v12, v8, vcc
	v_addc_co_u32_e32 v7, vcc, 0, v10, vcc
	v_add_co_u32_e32 v4, vcc, v4, v9
	v_addc_co_u32_e32 v9, vcc, 0, v7, vcc
	v_mul_lo_u32 v10, s21, v4
	v_mul_lo_u32 v11, s20, v9
	v_mad_u64_u32 v[7:8], s[0:1], s20, v4, 0
	v_add3_u32 v8, v8, v11, v10
	v_sub_u32_e32 v10, v6, v8
	v_mov_b32_e32 v11, s21
	v_sub_co_u32_e32 v7, vcc, v5, v7
	v_subb_co_u32_e64 v10, s[0:1], v10, v11, vcc
	v_subrev_co_u32_e64 v11, s[0:1], s20, v7
	v_subbrev_co_u32_e64 v10, s[0:1], 0, v10, s[0:1]
	v_cmp_le_u32_e64 s[0:1], s21, v10
	v_cndmask_b32_e64 v12, 0, -1, s[0:1]
	v_cmp_le_u32_e64 s[0:1], s20, v11
	v_cndmask_b32_e64 v11, 0, -1, s[0:1]
	v_cmp_eq_u32_e64 s[0:1], s21, v10
	v_cndmask_b32_e64 v10, v12, v11, s[0:1]
	v_add_co_u32_e64 v12, s[0:1], 2, v4
	v_addc_co_u32_e64 v11, s[0:1], 0, v9, s[0:1]
	v_add_co_u32_e64 v13, s[0:1], 1, v4
	v_addc_co_u32_e64 v14, s[0:1], 0, v9, s[0:1]
	v_subb_co_u32_e32 v8, vcc, v6, v8, vcc
	v_cmp_ne_u32_e64 s[0:1], 0, v10
	v_cmp_le_u32_e32 vcc, s21, v8
	v_cndmask_b32_e64 v10, v14, v11, s[0:1]
	v_cndmask_b32_e64 v11, 0, -1, vcc
	v_cmp_le_u32_e32 vcc, s20, v7
	v_cndmask_b32_e64 v7, 0, -1, vcc
	v_cmp_eq_u32_e32 vcc, s21, v8
	v_cndmask_b32_e32 v7, v11, v7, vcc
	v_cmp_ne_u32_e32 vcc, 0, v7
	v_cndmask_b32_e64 v7, v13, v12, s[0:1]
	v_cndmask_b32_e32 v11, v9, v10, vcc
	v_cndmask_b32_e32 v10, v4, v7, vcc
.LBB0_4:                                ;   in Loop: Header=BB0_2 Depth=1
	s_andn2_saveexec_b64 s[0:1], s[22:23]
	s_cbranch_execz .LBB0_6
; %bb.5:                                ;   in Loop: Header=BB0_2 Depth=1
	v_cvt_f32_u32_e32 v4, s20
	s_sub_i32 s22, 0, s20
	v_mov_b32_e32 v11, v3
	v_rcp_iflag_f32_e32 v4, v4
	v_mul_f32_e32 v4, 0x4f7ffffe, v4
	v_cvt_u32_f32_e32 v4, v4
	v_mul_lo_u32 v7, s22, v4
	v_mul_hi_u32 v7, v4, v7
	v_add_u32_e32 v4, v4, v7
	v_mul_hi_u32 v4, v5, v4
	v_mul_lo_u32 v7, v4, s20
	v_add_u32_e32 v8, 1, v4
	v_sub_u32_e32 v7, v5, v7
	v_subrev_u32_e32 v9, s20, v7
	v_cmp_le_u32_e32 vcc, s20, v7
	v_cndmask_b32_e32 v7, v7, v9, vcc
	v_cndmask_b32_e32 v4, v4, v8, vcc
	v_add_u32_e32 v8, 1, v4
	v_cmp_le_u32_e32 vcc, s20, v7
	v_cndmask_b32_e32 v10, v4, v8, vcc
.LBB0_6:                                ;   in Loop: Header=BB0_2 Depth=1
	s_or_b64 exec, exec, s[0:1]
	v_mul_lo_u32 v4, v11, s20
	v_mul_lo_u32 v9, v10, s21
	v_mad_u64_u32 v[7:8], s[0:1], v10, s20, 0
	s_load_dwordx2 s[0:1], s[6:7], 0x0
	s_add_u32 s18, s18, 1
	v_add3_u32 v4, v8, v9, v4
	v_sub_co_u32_e32 v5, vcc, v5, v7
	v_subb_co_u32_e32 v4, vcc, v6, v4, vcc
	s_waitcnt lgkmcnt(0)
	v_mul_lo_u32 v4, s0, v4
	v_mul_lo_u32 v6, s1, v5
	v_mad_u64_u32 v[1:2], s[0:1], s0, v5, v[1:2]
	s_addc_u32 s19, s19, 0
	s_add_u32 s6, s6, 8
	v_add3_u32 v2, v6, v2, v4
	v_mov_b32_e32 v4, s10
	v_mov_b32_e32 v5, s11
	s_addc_u32 s7, s7, 0
	v_cmp_ge_u64_e32 vcc, s[18:19], v[4:5]
	s_add_u32 s16, s16, 8
	s_addc_u32 s17, s17, 0
	s_cbranch_vccnz .LBB0_9
; %bb.7:                                ;   in Loop: Header=BB0_2 Depth=1
	v_mov_b32_e32 v5, v10
	v_mov_b32_e32 v6, v11
	s_branch .LBB0_2
.LBB0_8:
	v_mov_b32_e32 v11, v6
	v_mov_b32_e32 v10, v5
.LBB0_9:
	s_lshl_b64 s[0:1], s[10:11], 3
	s_add_u32 s0, s2, s0
	s_addc_u32 s1, s3, s1
	s_load_dwordx2 s[2:3], s[0:1], 0x0
	s_load_dwordx2 s[6:7], s[4:5], 0x20
                                        ; implicit-def: $vgpr6
                                        ; implicit-def: $vgpr33
                                        ; implicit-def: $vgpr13
                                        ; implicit-def: $vgpr31
                                        ; implicit-def: $vgpr14
                                        ; implicit-def: $vgpr30
                                        ; implicit-def: $vgpr15
                                        ; implicit-def: $vgpr29
                                        ; implicit-def: $vgpr16
                                        ; implicit-def: $vgpr28
                                        ; implicit-def: $vgpr17
                                        ; implicit-def: $vgpr7
                                        ; implicit-def: $vgpr18
                                        ; implicit-def: $vgpr5
                                        ; implicit-def: $vgpr19
                                        ; implicit-def: $vgpr35
                                        ; implicit-def: $vgpr20
                                        ; implicit-def: $vgpr36
                                        ; implicit-def: $vgpr21
                                        ; implicit-def: $vgpr38
                                        ; implicit-def: $vgpr27
                                        ; implicit-def: $vgpr43
                                        ; implicit-def: $vgpr22
                                        ; implicit-def: $vgpr42
                                        ; implicit-def: $vgpr23
                                        ; implicit-def: $vgpr41
                                        ; implicit-def: $vgpr24
                                        ; implicit-def: $vgpr40
                                        ; implicit-def: $vgpr25
                                        ; implicit-def: $vgpr39
                                        ; implicit-def: $vgpr26
                                        ; implicit-def: $vgpr37
	s_waitcnt lgkmcnt(0)
	v_mad_u64_u32 v[8:9], s[0:1], s2, v10, v[1:2]
	s_mov_b32 s0, 0x226b903
	v_mul_hi_u32 v1, v0, s0
	v_mul_lo_u32 v3, s2, v11
	v_mul_lo_u32 v4, s3, v10
	v_cmp_gt_u64_e32 vcc, s[6:7], v[10:11]
	v_mul_u32_u24_e32 v1, 0x77, v1
	v_sub_u32_e32 v11, v0, v1
	v_add3_u32 v9, v4, v9, v3
	v_mov_b32_e32 v4, 0
	v_mov_b32_e32 v10, 0
	;; [unrolled: 1-line block ×3, first 2 shown]
	s_and_saveexec_b64 s[2:3], vcc
	s_cbranch_execz .LBB0_13
; %bb.10:
	s_movk_i32 s0, 0x4d
	v_cmp_gt_u32_e64 s[0:1], s0, v11
	v_mov_b32_e32 v0, 0
	v_mov_b32_e32 v4, 0
                                        ; implicit-def: $vgpr37
                                        ; implicit-def: $vgpr26
                                        ; implicit-def: $vgpr39
                                        ; implicit-def: $vgpr25
                                        ; implicit-def: $vgpr40
                                        ; implicit-def: $vgpr24
                                        ; implicit-def: $vgpr41
                                        ; implicit-def: $vgpr23
                                        ; implicit-def: $vgpr42
                                        ; implicit-def: $vgpr22
                                        ; implicit-def: $vgpr43
                                        ; implicit-def: $vgpr27
                                        ; implicit-def: $vgpr38
                                        ; implicit-def: $vgpr21
                                        ; implicit-def: $vgpr36
                                        ; implicit-def: $vgpr20
                                        ; implicit-def: $vgpr35
                                        ; implicit-def: $vgpr19
                                        ; implicit-def: $vgpr5
                                        ; implicit-def: $vgpr18
                                        ; implicit-def: $vgpr7
                                        ; implicit-def: $vgpr17
                                        ; implicit-def: $vgpr28
                                        ; implicit-def: $vgpr16
                                        ; implicit-def: $vgpr29
                                        ; implicit-def: $vgpr15
                                        ; implicit-def: $vgpr30
                                        ; implicit-def: $vgpr14
                                        ; implicit-def: $vgpr31
                                        ; implicit-def: $vgpr13
                                        ; implicit-def: $vgpr33
                                        ; implicit-def: $vgpr6
	s_and_saveexec_b64 s[4:5], s[0:1]
	s_cbranch_execz .LBB0_12
; %bb.11:
	v_mad_u64_u32 v[0:1], s[0:1], s12, v11, 0
	v_add_u32_e32 v7, 0x4d, v11
	v_mad_u64_u32 v[4:5], s[0:1], s12, v7, 0
	v_mad_u64_u32 v[1:2], s[0:1], s13, v11, v[1:2]
	v_lshlrev_b64 v[2:3], 2, v[8:9]
	v_mov_b32_e32 v6, s15
	v_add_co_u32_e64 v10, s[0:1], s14, v2
	v_mov_b32_e32 v2, v5
	v_addc_co_u32_e64 v32, s[0:1], v6, v3, s[0:1]
	v_mad_u64_u32 v[2:3], s[0:1], s13, v7, v[2:3]
	v_add_u32_e32 v3, 0x9a, v11
	v_mad_u64_u32 v[6:7], s[0:1], s12, v3, 0
	v_lshlrev_b64 v[0:1], 2, v[0:1]
	v_mov_b32_e32 v5, v2
	v_add_co_u32_e64 v12, s[0:1], v10, v0
	v_mov_b32_e32 v2, v7
	v_addc_co_u32_e64 v13, s[0:1], v32, v1, s[0:1]
	v_lshlrev_b64 v[0:1], 2, v[4:5]
	v_mad_u64_u32 v[2:3], s[0:1], s13, v3, v[2:3]
	v_add_u32_e32 v5, 0xe7, v11
	v_mad_u64_u32 v[3:4], s[0:1], s12, v5, 0
	v_add_co_u32_e64 v14, s[0:1], v10, v0
	v_mov_b32_e32 v7, v2
	v_mov_b32_e32 v2, v4
	v_addc_co_u32_e64 v15, s[0:1], v32, v1, s[0:1]
	v_lshlrev_b64 v[0:1], 2, v[6:7]
	v_mad_u64_u32 v[4:5], s[0:1], s13, v5, v[2:3]
	v_add_u32_e32 v7, 0x134, v11
	v_mad_u64_u32 v[5:6], s[0:1], s12, v7, 0
	v_add_co_u32_e64 v16, s[0:1], v10, v0
	v_mov_b32_e32 v2, v6
	v_addc_co_u32_e64 v17, s[0:1], v32, v1, s[0:1]
	v_lshlrev_b64 v[0:1], 2, v[3:4]
	v_mad_u64_u32 v[2:3], s[0:1], s13, v7, v[2:3]
	v_add_u32_e32 v7, 0x181, v11
	v_mad_u64_u32 v[3:4], s[0:1], s12, v7, 0
	v_add_co_u32_e64 v18, s[0:1], v10, v0
	v_mov_b32_e32 v6, v2
	v_mov_b32_e32 v2, v4
	v_addc_co_u32_e64 v19, s[0:1], v32, v1, s[0:1]
	v_lshlrev_b64 v[0:1], 2, v[5:6]
	v_mad_u64_u32 v[4:5], s[0:1], s13, v7, v[2:3]
	v_add_u32_e32 v7, 0x1ce, v11
	v_mad_u64_u32 v[5:6], s[0:1], s12, v7, 0
	v_add_co_u32_e64 v20, s[0:1], v10, v0
	v_mov_b32_e32 v2, v6
	v_addc_co_u32_e64 v21, s[0:1], v32, v1, s[0:1]
	v_lshlrev_b64 v[0:1], 2, v[3:4]
	v_mad_u64_u32 v[2:3], s[0:1], s13, v7, v[2:3]
	v_add_u32_e32 v7, 0x21b, v11
	v_mad_u64_u32 v[3:4], s[0:1], s12, v7, 0
	v_add_co_u32_e64 v22, s[0:1], v10, v0
	v_mov_b32_e32 v6, v2
	v_mov_b32_e32 v2, v4
	v_addc_co_u32_e64 v23, s[0:1], v32, v1, s[0:1]
	v_lshlrev_b64 v[0:1], 2, v[5:6]
	v_mad_u64_u32 v[4:5], s[0:1], s13, v7, v[2:3]
	v_add_co_u32_e64 v24, s[0:1], v10, v0
	v_addc_co_u32_e64 v25, s[0:1], v32, v1, s[0:1]
	v_lshlrev_b64 v[0:1], 2, v[3:4]
	v_add_u32_e32 v4, 0x268, v11
	v_mad_u64_u32 v[2:3], s[0:1], s12, v4, 0
	v_add_co_u32_e64 v26, s[0:1], v10, v0
	v_mov_b32_e32 v0, v3
	v_addc_co_u32_e64 v27, s[0:1], v32, v1, s[0:1]
	v_mad_u64_u32 v[3:4], s[0:1], s13, v4, v[0:1]
	global_load_dword v0, v[12:13], off
	global_load_dword v33, v[14:15], off
	;; [unrolled: 1-line block ×8, first 2 shown]
	v_add_u32_e32 v4, 0x2b5, v11
	v_mad_u64_u32 v[34:35], s[0:1], s12, v4, 0
	v_add_u32_e32 v14, 0x302, v11
	v_mad_u64_u32 v[12:13], s[0:1], s12, v14, 0
	v_lshlrev_b64 v[1:2], 2, v[2:3]
	v_mov_b32_e32 v3, v35
	v_mad_u64_u32 v[3:4], s[0:1], s13, v4, v[3:4]
	v_add_co_u32_e64 v1, s[0:1], v10, v1
	v_mov_b32_e32 v6, v13
	v_addc_co_u32_e64 v2, s[0:1], v32, v2, s[0:1]
	v_add_u32_e32 v16, 0x34f, v11
	v_mov_b32_e32 v35, v3
	v_lshlrev_b64 v[3:4], 2, v[34:35]
	v_add_u32_e32 v18, 0x39c, v11
	v_add_u32_e32 v20, 0x3e9, v11
	;; [unrolled: 1-line block ×5, first 2 shown]
	s_waitcnt vmcnt(1)
	v_mad_u64_u32 v[13:14], s[0:1], s13, v14, v[6:7]
	v_mad_u64_u32 v[14:15], s[0:1], s12, v16, 0
	v_add_co_u32_e64 v3, s[0:1], v10, v3
	v_mov_b32_e32 v6, v15
	v_addc_co_u32_e64 v4, s[0:1], v32, v4, s[0:1]
	v_mad_u64_u32 v[15:16], s[0:1], s13, v16, v[6:7]
	v_mad_u64_u32 v[16:17], s[0:1], s12, v18, 0
	v_lshlrev_b64 v[12:13], 2, v[12:13]
	v_lshlrev_b64 v[14:15], 2, v[14:15]
	v_add_co_u32_e64 v12, s[0:1], v10, v12
	v_mov_b32_e32 v6, v17
	v_addc_co_u32_e64 v13, s[0:1], v32, v13, s[0:1]
	v_mad_u64_u32 v[17:18], s[0:1], s13, v18, v[6:7]
	v_mad_u64_u32 v[18:19], s[0:1], s12, v20, 0
	v_add_co_u32_e64 v14, s[0:1], v10, v14
	v_mov_b32_e32 v6, v19
	v_addc_co_u32_e64 v15, s[0:1], v32, v15, s[0:1]
	v_mad_u64_u32 v[19:20], s[0:1], s13, v20, v[6:7]
	v_mad_u64_u32 v[20:21], s[0:1], s12, v22, 0
	v_lshlrev_b64 v[16:17], 2, v[16:17]
	v_lshlrev_b64 v[18:19], 2, v[18:19]
	v_add_co_u32_e64 v16, s[0:1], v10, v16
	v_mov_b32_e32 v6, v21
	v_addc_co_u32_e64 v17, s[0:1], v32, v17, s[0:1]
	v_mad_u64_u32 v[21:22], s[0:1], s13, v22, v[6:7]
	v_mad_u64_u32 v[22:23], s[0:1], s12, v24, 0
	v_add_co_u32_e64 v18, s[0:1], v10, v18
	v_lshlrev_b64 v[20:21], 2, v[20:21]
	v_mov_b32_e32 v6, v23
	v_addc_co_u32_e64 v19, s[0:1], v32, v19, s[0:1]
	v_mad_u64_u32 v[23:24], s[0:1], s13, v24, v[6:7]
	v_add_co_u32_e64 v20, s[0:1], v10, v20
	v_addc_co_u32_e64 v21, s[0:1], v32, v21, s[0:1]
	v_mad_u64_u32 v[24:25], s[0:1], s12, v26, 0
	v_lshlrev_b64 v[22:23], 2, v[22:23]
	v_add_co_u32_e64 v22, s[0:1], v10, v22
	v_mov_b32_e32 v6, v25
	v_addc_co_u32_e64 v23, s[0:1], v32, v23, s[0:1]
	v_mad_u64_u32 v[25:26], s[0:1], s13, v26, v[6:7]
	global_load_dword v35, v[1:2], off
	global_load_dword v36, v[3:4], off
	global_load_dword v37, v[12:13], off
	global_load_dword v38, v[14:15], off
	global_load_dword v39, v[16:17], off
	global_load_dword v40, v[18:19], off
	global_load_dword v41, v[20:21], off
	global_load_dword v42, v[22:23], off
	v_lshrrev_b32_e32 v4, 16, v0
	v_lshlrev_b64 v[1:2], 2, v[24:25]
	v_lshrrev_b32_e32 v6, 16, v33
	v_add_co_u32_e64 v1, s[0:1], v10, v1
	v_addc_co_u32_e64 v2, s[0:1], v32, v2, s[0:1]
	global_load_dword v43, v[1:2], off
	v_lshrrev_b32_e32 v13, 16, v31
	v_lshrrev_b32_e32 v14, 16, v30
	;; [unrolled: 1-line block ×5, first 2 shown]
	s_waitcnt vmcnt(9)
	v_lshrrev_b32_e32 v18, 16, v5
	s_waitcnt vmcnt(8)
	v_lshrrev_b32_e32 v19, 16, v35
	;; [unrolled: 2-line block ×10, first 2 shown]
.LBB0_12:
	s_or_b64 exec, exec, s[4:5]
	v_mov_b32_e32 v10, v11
.LBB0_13:
	s_or_b64 exec, exec, s[2:3]
	v_add_f16_e32 v1, v33, v43
	s_mov_b32 s0, 0x2de8b8d2
	v_sub_f16_e32 v51, v6, v27
	s_mov_b32 s4, 0xbbf7ba62
	v_pk_mul_f16 v2, v1, s0 op_sel_hi:[0,1]
	s_mov_b32 s0, 0xbbddb461
	v_add_f16_e32 v57, v31, v42
	v_pk_fma_f16 v3, v51, s4, v2 op_sel_hi:[0,1,1]
	s_mov_b32 s5, 0xb1e13bb2
	v_sub_f16_e32 v58, v13, v22
	v_pk_mul_f16 v44, v57, s0 op_sel_hi:[0,1]
	s_mov_b32 s0, 0xb4613b76
	v_add_f16_e32 v65, v30, v41
	v_pk_add_f16 v3, v0, v3 op_sel_hi:[0,1]
	v_pk_fma_f16 v12, v58, s5, v44 op_sel_hi:[0,1,1]
	s_mov_b32 s6, 0x3bb2b5c8
	v_sub_f16_e32 v66, v14, v23
	v_pk_mul_f16 v45, v65, s0 op_sel_hi:[0,1]
	s_mov_b32 s0, 0x3b76bacd
	v_add_f16_e32 v72, v29, v40
	v_pk_add_f16 v3, v3, v12
	v_pk_fma_f16 v12, v66, s6, v45 op_sel_hi:[0,1,1]
	s_mov_b32 s7, 0x35c8b836
	v_sub_f16_e32 v73, v15, v24
	v_pk_mul_f16 v46, v72, s0 op_sel_hi:[0,1]
	s_mov_b32 s0, 0x37222de8
	v_add_f16_e32 v74, v28, v39
	v_pk_add_f16 v3, v3, v12
	;; [unrolled: 7-line block ×5, first 2 shown]
	v_pk_fma_f16 v12, v79, s16, v49 op_sel_hi:[0,1,1]
	s_mov_b32 s17, 0x39643b29
	v_sub_f16_e32 v81, v19, v20
	v_pk_mul_f16 v50, v80, s0 op_sel_hi:[0,1]
	v_pk_add_f16 v3, v3, v12
	v_pk_fma_f16 v12, v81, s17, v50 op_sel_hi:[0,1,1]
	s_mov_b32 s1, 0xb1e1b836
	v_pk_add_f16 v12, v12, v3
	s_mov_b32 s0, 0xbbddbacd
	v_pk_mul_f16 v3, v51, s1 op_sel_hi:[0,1]
	s_mov_b32 s2, 0x35c83b29
	v_pk_fma_f16 v32, v1, s0, v3 op_sel_hi:[0,1,1] neg_lo:[0,0,1] neg_hi:[0,0,1]
	s_mov_b32 s1, 0x3b763722
	v_pk_mul_f16 v34, v58, s2 op_sel_hi:[0,1]
	v_pk_add_f16 v32, v0, v32 op_sel_hi:[0,1]
	v_pk_fma_f16 v52, v57, s1, v34 op_sel_hi:[0,1,1] neg_lo:[0,0,1] neg_hi:[0,0,1]
	v_pk_mul_f16 v53, v1, s0 op_sel_hi:[0,1]
	v_pk_add_f16 v32, v32, v52
	v_add_f16_sdwa v52, v3, v53 dst_sel:DWORD dst_unused:UNUSED_PAD src0_sel:WORD_1 src1_sel:WORD_1
	v_pk_mul_f16 v56, v57, s1 op_sel_hi:[0,1]
	s_mov_b32 s1, 0xb836bbf7
	v_add_f16_e32 v52, v0, v52
	v_add_f16_sdwa v54, v34, v56 dst_sel:DWORD dst_unused:UNUSED_PAD src0_sel:WORD_1 src1_sel:WORD_1
	s_mov_b32 s0, 0xbacd2de8
	v_pk_mul_f16 v59, v66, s1 op_sel_hi:[0,1]
	v_add_f16_e32 v52, v52, v54
	v_pk_fma_f16 v54, v65, s0, v59 op_sel_hi:[0,1,1] neg_lo:[0,0,1] neg_hi:[0,0,1]
	v_pk_mul_f16 v61, v65, s0 op_sel_hi:[0,1]
	s_mov_b32 s1, 0x39643a62
	v_pk_add_f16 v32, v32, v54
	v_add_f16_sdwa v54, v59, v61 dst_sel:DWORD dst_unused:UNUSED_PAD src0_sel:WORD_1 src1_sel:WORD_1
	s_mov_b32 s0, 0x39e9b8d2
	v_pk_mul_f16 v62, v73, s1 op_sel_hi:[0,1]
	v_add_f16_e32 v52, v52, v54
	v_pk_fma_f16 v54, v72, s0, v62 op_sel_hi:[0,1,1] neg_lo:[0,0,1] neg_hi:[0,0,1]
	v_pk_mul_f16 v63, v72, s0 op_sel_hi:[0,1]
	s_mov_b32 s1, 0xba62b5c8
	v_pk_add_f16 v32, v32, v54
	;; [unrolled: 8-line block ×4, first 2 shown]
	v_add_f16_sdwa v54, v68, v69 dst_sel:DWORD dst_unused:UNUSED_PAD src0_sel:WORD_1 src1_sel:WORD_1
	s_mov_b32 s0, 0xb46139e9
	v_pk_mul_f16 v70, v79, s1 op_sel_hi:[0,1]
	v_add_f16_e32 v52, v54, v52
	v_pk_fma_f16 v54, v78, s0, v70 op_sel_hi:[0,1,1] neg_lo:[0,0,1] neg_hi:[0,0,1]
	v_pk_add_f16 v82, v32, v54
	v_pk_mul_f16 v32, v78, s0 op_sel_hi:[0,1]
	v_add_f16_sdwa v54, v70, v32 dst_sel:DWORD dst_unused:UNUSED_PAD src0_sel:WORD_1 src1_sel:WORD_1
	v_add_f16_e32 v83, v52, v54
	v_mul_f16_e32 v52, 0xbbb2, v51
	v_mul_f16_e32 v54, 0xb461, v1
	v_pack_b32_f16 v3, v52, v3
	v_pack_b32_f16 v53, v54, v53
	v_pk_add_f16 v3, v3, v53
	v_mul_f16_e32 v53, 0x3836, v58
	v_mul_f16_e32 v55, 0xbacd, v57
	v_pack_b32_f16 v34, v53, v34
	v_pack_b32_f16 v56, v55, v56
	v_pk_add_f16 v34, v34, v56
	v_pk_add_f16 v3, v0, v3 op_sel_hi:[0,1]
	v_mul_f16_e32 v56, 0x3964, v66
	v_mul_f16_e32 v60, 0x39e9, v65
	v_pk_add_f16 v3, v3, v34
	v_pack_b32_f16 v34, v56, v59
	v_pack_b32_f16 v59, v60, v61
	v_pk_add_f16 v34, v34, v59
	v_mul_f16_e32 v59, 0xbb29, v73
	v_pk_add_f16 v3, v3, v34
	v_pack_b32_f16 v34, v59, v62
	v_mul_f16_e32 v62, 0x3722, v72
	v_pack_b32_f16 v61, v62, v63
	v_pk_add_f16 v34, v34, v61
	v_mul_f16_e32 v61, 0xb1e1, v75
	v_pk_add_f16 v3, v3, v34
	v_pack_b32_f16 v34, v61, v64
	v_mul_f16_e32 v64, 0xbbdd, v74
	;; [unrolled: 6-line block ×3, first 2 shown]
	v_pack_b32_f16 v67, v68, v69
	v_pk_add_f16 v34, v34, v67
	v_mul_f16_e32 v67, 0xb5c8, v79
	v_mul_f16_e32 v69, 0x3b76, v78
	v_pk_add_f16 v3, v34, v3
	v_pack_b32_f16 v34, v67, v70
	v_pack_b32_f16 v32, v69, v32
	s_mov_b32 s0, 0x2de8b461
	s_mov_b32 s1, 0x3bf7bbb2
	v_pk_add_f16 v32, v34, v32
	v_mul_f16_e32 v70, 0xb8d2, v80
	v_mul_f16_e32 v71, 0xba62, v81
	v_pk_mul_f16 v34, v80, s0 op_sel_hi:[0,1]
	v_pk_mul_f16 v84, v81, s1 op_sel_hi:[0,1]
	v_pk_add_f16 v3, v3, v32
	v_pack_b32_f16 v32, v71, v84
	v_pack_b32_f16 v85, v70, v34
	v_pk_add_f16 v32, v32, v85
	v_pk_add_f16 v32, v32, v3
	v_add_f16_sdwa v3, v84, v34 dst_sel:DWORD dst_unused:UNUSED_PAD src0_sel:WORD_1 src1_sel:WORD_1
	v_add_f16_e32 v34, v3, v83
	v_pk_fma_f16 v3, v80, s0, v84 op_sel_hi:[0,1,1] neg_lo:[0,0,1] neg_hi:[0,0,1]
	s_movk_i32 s0, 0x4d
	v_cmp_gt_u32_e64 s[2:3], s0, v11
	v_pk_add_f16 v3, v3, v82
	s_and_saveexec_b64 s[0:1], s[2:3]
	s_cbranch_execz .LBB0_15
; %bb.14:
	v_pack_b32_f16 v82, v1, v1
	v_pack_b32_f16 v83, v51, v51
	v_pk_mul_f16 v88, v58, s5 op_sel_hi:[0,1]
	v_pk_mul_f16 v91, v66, s6 op_sel_hi:[0,1]
	s_mov_b32 s5, 0x39e93b76
	s_mov_b32 s6, 0xb964b5c8
	v_pk_mul_f16 v108, v82, s5
	v_pk_mul_f16 v83, v83, s6
	v_pk_mul_f16 v84, v51, s4 op_sel_hi:[0,1]
	s_mov_b32 s4, 0x5040100
	v_mul_f16_e32 v107, 0x3722, v1
	v_add_f16_e32 v1, v83, v108
	v_perm_b32 v85, v0, v0, s4
	v_add_f16_e32 v1, v0, v1
	v_add_f16_e32 v0, v0, v33
	v_add_f16_e32 v0, v0, v31
	v_add_f16_e32 v0, v0, v30
	v_add_f16_e32 v0, v0, v29
	v_add_f16_e32 v0, v0, v28
	v_add_f16_e32 v0, v0, v7
	v_add_f16_e32 v0, v0, v5
	v_add_f16_e32 v0, v0, v35
	v_pack_b32_f16 v86, v57, v57
	v_pack_b32_f16 v87, v58, v58
	v_pk_mul_f16 v94, v73, s7 op_sel_hi:[0,1]
	s_mov_b32 s6, 0x2de839e9
	s_mov_b32 s7, 0xbbf7b964
	v_add_f16_e32 v0, v0, v36
	v_pack_b32_f16 v89, v65, v65
	v_pack_b32_f16 v90, v66, v66
	v_pk_mul_f16 v97, v75, s10 op_sel_hi:[0,1]
	v_pk_mul_f16 v109, v86, s6
	v_pk_mul_f16 v87, v87, s7
	s_mov_b32 s7, 0xb8d23722
	s_mov_b32 s10, 0xba62bb29
	v_add_f16_e32 v0, v0, v37
	v_pack_b32_f16 v92, v72, v72
	v_pack_b32_f16 v93, v73, v73
	v_pk_mul_f16 v100, v77, s11 op_sel_hi:[0,1]
	v_pk_mul_f16 v110, v89, s7
	v_pk_mul_f16 v90, v90, s10
	s_mov_b32 s10, 0xbbdd2de8
	s_mov_b32 s11, 0xb1e1bbf7
	v_add_f16_e32 v116, v87, v109
	v_add_f16_e32 v0, v38, v0
	v_pack_b32_f16 v95, v74, v74
	v_pack_b32_f16 v96, v75, v75
	v_pk_mul_f16 v103, v79, s16 op_sel_hi:[0,1]
	v_pk_mul_f16 v111, v92, s10
	v_pk_mul_f16 v93, v93, s11
	s_mov_b32 s11, 0xbacdb461
	s_mov_b32 s16, 0x3836bbb2
	v_add_f16_e32 v1, v1, v116
	v_add_f16_e32 v116, v90, v110
	;; [unrolled: 1-line block ×3, first 2 shown]
	v_pack_b32_f16 v98, v76, v76
	v_pack_b32_f16 v99, v77, v77
	v_pk_mul_f16 v106, v81, s17 op_sel_hi:[0,1]
	v_pk_mul_f16 v112, v95, s11
	v_pk_mul_f16 v96, v96, s16
	s_mov_b32 s16, 0xb461b8d2
	s_mov_b32 s17, 0x3bb2ba62
	v_add_f16_e32 v1, v1, v116
	v_add_f16_e32 v116, v93, v111
	;; [unrolled: 1-line block ×3, first 2 shown]
	v_pack_b32_f16 v101, v78, v78
	v_pack_b32_f16 v102, v79, v79
	v_pk_mul_f16 v113, v98, s16
	v_pk_mul_f16 v99, v99, s17
	s_mov_b32 s17, 0x3722bacd
	s_mov_b32 s18, 0x3b29b836
	v_add_f16_e32 v1, v1, v116
	v_add_f16_e32 v116, v96, v112
	;; [unrolled: 1-line block ×3, first 2 shown]
	v_pack_b32_f16 v104, v80, v80
	v_pack_b32_f16 v105, v81, v81
	v_pk_mul_f16 v114, v101, s17
	v_pk_mul_f16 v102, v102, s18
	s_mov_b32 s18, 0x3b76bbdd
	s_mov_b32 s19, 0x35c8b1e1
	v_add_f16_e32 v1, v1, v116
	v_add_f16_e32 v116, v99, v113
	;; [unrolled: 1-line block ×3, first 2 shown]
	v_pk_mul_f16 v115, v104, s18
	v_pk_mul_f16 v105, v105, s19
	v_add_f16_e32 v1, v116, v1
	v_add_f16_e32 v116, v102, v114
	;; [unrolled: 1-line block ×3, first 2 shown]
	v_mad_u32_u24 v117, v11, 34, 0
	v_add_f16_e32 v1, v1, v116
	v_add_f16_e32 v116, v105, v115
	ds_write_b16 v117, v0
	v_pk_fma_f16 v0, v82, s5, v83 neg_lo:[0,0,1] neg_hi:[0,0,1]
	v_add_f16_e32 v116, v116, v1
	v_pk_add_f16 v0, v85, v0
	v_pk_fma_f16 v1, v86, s6, v87 neg_lo:[0,0,1] neg_hi:[0,0,1]
	v_pk_add_f16 v0, v0, v1
	v_pk_fma_f16 v1, v89, s7, v90 neg_lo:[0,0,1] neg_hi:[0,0,1]
	;; [unrolled: 2-line block ×6, first 2 shown]
	v_mul_f16_e32 v51, 0xbb29, v51
	v_pk_add_f16 v0, v0, v1
	v_pk_fma_f16 v1, v104, s18, v105 neg_lo:[0,0,1] neg_hi:[0,0,1]
	s_mov_b32 s5, 0xffff
	v_mul_f16_e32 v57, 0xb8d2, v57
	v_mul_f16_e32 v58, 0xba62, v58
	v_pk_add_f16 v0, v1, v0
	v_bfi_b32 v1, s5, v107, v2
	v_bfi_b32 v82, s5, v51, v84
	v_perm_b32 v2, v2, v54, s4
	v_perm_b32 v52, v84, v52, s4
	v_pk_add_f16 v1, v1, v82 neg_lo:[0,1] neg_hi:[0,1]
	v_bfi_b32 v82, s5, v57, v44
	v_bfi_b32 v86, s5, v58, v88
	v_pk_add_f16 v2, v2, v52 neg_lo:[0,1] neg_hi:[0,1]
	v_perm_b32 v44, v44, v55, s4
	v_perm_b32 v52, v88, v53, s4
	v_mul_f16_e32 v65, 0xbbdd, v65
	v_mul_f16_e32 v66, 0x31e1, v66
	v_pk_add_f16 v1, v85, v1
	v_pk_add_f16 v82, v82, v86 neg_lo:[0,1] neg_hi:[0,1]
	v_pk_add_f16 v2, v85, v2
	v_pk_add_f16 v44, v44, v52 neg_lo:[0,1] neg_hi:[0,1]
	v_pk_add_f16 v1, v1, v82
	v_bfi_b32 v82, s5, v65, v45
	v_bfi_b32 v86, s5, v66, v91
	v_pk_add_f16 v2, v2, v44
	v_perm_b32 v44, v45, v60, s4
	v_perm_b32 v45, v91, v56, s4
	v_mul_f16_e32 v72, 0xb461, v72
	v_mul_f16_e32 v73, 0x3bb2, v73
	v_pk_add_f16 v82, v82, v86 neg_lo:[0,1] neg_hi:[0,1]
	v_pk_add_f16 v44, v44, v45 neg_lo:[0,1] neg_hi:[0,1]
	v_pk_add_f16 v1, v1, v82
	v_bfi_b32 v82, s5, v72, v46
	v_bfi_b32 v86, s5, v73, v94
	v_pk_add_f16 v2, v2, v44
	v_perm_b32 v44, v46, v62, s4
	v_perm_b32 v45, v94, v59, s4
	v_mul_f16_e32 v74, 0x39e9, v74
	v_mul_f16_e32 v75, 0x3964, v75
	v_pk_add_f16 v82, v82, v86 neg_lo:[0,1] neg_hi:[0,1]
	;; [unrolled: 10-line block ×5, first 2 shown]
	v_pk_add_f16 v44, v44, v45 neg_lo:[0,1] neg_hi:[0,1]
	v_pk_add_f16 v1, v1, v82
	v_bfi_b32 v82, s5, v80, v50
	v_bfi_b32 v86, s5, v81, v106
	v_pk_add_f16 v2, v2, v44
	v_perm_b32 v44, v50, v70, s4
	v_perm_b32 v45, v106, v71, s4
	v_pk_add_f16 v82, v82, v86 neg_lo:[0,1] neg_hi:[0,1]
	v_pk_add_f16 v44, v44, v45 neg_lo:[0,1] neg_hi:[0,1]
	v_pk_add_f16 v1, v82, v1
	v_pk_add_f16 v2, v44, v2
	ds_write_b128 v117, v[0:3] offset:2
	v_bfi_b32 v0, s5, v51, v83
	v_bfi_b32 v1, s5, v107, v108
	v_pk_add_f16 v0, v0, v1
	v_bfi_b32 v1, s5, v58, v87
	v_bfi_b32 v2, s5, v57, v109
	v_pk_add_f16 v0, v85, v0
	v_pk_add_f16 v1, v1, v2
	v_pk_add_f16 v0, v0, v1
	v_bfi_b32 v1, s5, v66, v90
	v_bfi_b32 v2, s5, v65, v110
	v_pk_add_f16 v1, v1, v2
	v_pk_add_f16 v0, v0, v1
	v_bfi_b32 v1, s5, v73, v93
	v_bfi_b32 v2, s5, v72, v111
	v_pk_add_f16 v1, v1, v2
	v_pk_add_f16 v0, v0, v1
	;; [unrolled: 4-line block ×6, first 2 shown]
	v_alignbit_b32 v47, v116, v0, 16
	v_alignbit_b32 v46, v0, v12, 16
	v_bfi_b32 v44, s5, v34, v32
	v_perm_b32 v45, v32, v12, s4
	ds_write_b128 v117, v[44:47] offset:18
.LBB0_15:
	s_or_b64 exec, exec, s[0:1]
	v_lshl_add_u32 v0, v11, 1, 0
	s_waitcnt lgkmcnt(0)
	s_barrier
	ds_read_u16 v1, v0
	ds_read_u16 v48, v0 offset:374
	ds_read_u16 v47, v0 offset:748
	;; [unrolled: 1-line block ×6, first 2 shown]
	s_movk_i32 s0, 0x44
	v_cmp_gt_u32_e64 s[0:1], s0, v11
	s_and_saveexec_b64 s[4:5], s[0:1]
	s_cbranch_execz .LBB0_17
; %bb.16:
	ds_read_u16 v3, v0 offset:238
	ds_read_u16 v12, v0 offset:612
	;; [unrolled: 1-line block ×7, first 2 shown]
	s_mov_b32 s6, 0x5040100
	s_waitcnt lgkmcnt(5)
	v_perm_b32 v3, v12, v3, s6
	s_waitcnt lgkmcnt(2)
	v_perm_b32 v12, v32, v50, s6
	;; [unrolled: 2-line block ×3, first 2 shown]
.LBB0_17:
	s_or_b64 exec, exec, s[4:5]
	v_sub_f16_e32 v43, v33, v43
	v_add_f16_e32 v49, v6, v27
	s_mov_b32 s4, 0xbacd
	v_mul_f16_e32 v62, 0xb836, v43
	v_sub_f16_e32 v42, v31, v42
	v_fma_f16 v33, v49, s4, -v62
	v_add_f16_e32 v50, v13, v22
	s_movk_i32 s4, 0x3722
	v_mul_f16_e32 v64, 0x3b29, v42
	v_sub_f16_e32 v52, v30, v41
	v_add_f16_e32 v33, v4, v33
	v_fma_f16 v31, v50, s4, -v64
	v_add_f16_e32 v51, v14, v23
	s_movk_i32 s4, 0x2de8
	v_mul_f16_e32 v65, 0xbbf7, v52
	v_sub_f16_e32 v54, v29, v40
	v_add_f16_e32 v31, v33, v31
	v_fma_f16 v33, v51, s4, -v65
	v_add_f16_e32 v53, v15, v24
	s_mov_b32 s4, 0xb8d2
	v_mul_f16_e32 v67, 0x3a62, v54
	v_sub_f16_e32 v56, v28, v39
	v_add_f16_e32 v31, v31, v33
	v_fma_f16 v29, v53, s4, -v67
	v_add_f16_e32 v55, v16, v25
	s_movk_i32 s4, 0x3b76
	v_mul_f16_e32 v69, 0xb5c8, v56
	v_sub_f16_e32 v58, v7, v38
	v_add_f16_e32 v29, v31, v29
	v_fma_f16 v28, v55, s4, -v69
	v_add_f16_e32 v57, v17, v21
	s_mov_b32 s4, 0xbbdd
	v_mul_f16_e32 v70, 0xb1e1, v58
	v_sub_f16_e32 v60, v5, v37
	v_add_f16_e32 v28, v29, v28
	v_fma_f16 v29, v57, s4, -v70
	v_add_f16_e32 v59, v18, v26
	s_movk_i32 s4, 0x39e9
	v_mul_f16_e32 v72, 0x3964, v60
	v_add_f16_e32 v28, v29, v28
	v_fma_f16 v5, v59, s4, -v72
	s_mov_b32 s4, 0xbbf7bbb2
	v_add_f16_e32 v29, v28, v5
	s_mov_b32 s6, 0x2de8b461
	v_pk_mul_f16 v5, v43, s4 op_sel_hi:[0,1]
	s_mov_b32 s4, 0xb1e13836
	v_pk_fma_f16 v28, v49, s6, v5 op_sel_hi:[0,1,1] neg_lo:[0,0,1] neg_hi:[0,0,1]
	s_mov_b32 s7, 0xbbddbacd
	v_pk_mul_f16 v31, v42, s4 op_sel_hi:[0,1]
	v_pk_add_f16 v28, v4, v28 op_sel_hi:[0,1]
	v_pk_fma_f16 v33, v50, s7, v31 op_sel_hi:[0,1,1] neg_lo:[0,0,1] neg_hi:[0,0,1]
	s_mov_b32 s4, 0x3bb23964
	v_pk_add_f16 v28, v28, v33
	s_mov_b32 s10, 0xb46139e9
	v_pk_mul_f16 v33, v52, s4 op_sel_hi:[0,1]
	v_sub_f16_e32 v41, v35, v36
	v_pk_fma_f16 v35, v51, s10, v33 op_sel_hi:[0,1,1] neg_lo:[0,0,1] neg_hi:[0,0,1]
	s_mov_b32 s4, 0x35c8bb29
	v_pk_add_f16 v28, v28, v35
	s_mov_b32 s11, 0x3b763722
	v_pk_mul_f16 v35, v54, s4 op_sel_hi:[0,1]
	v_pk_fma_f16 v36, v53, s11, v35 op_sel_hi:[0,1,1] neg_lo:[0,0,1] neg_hi:[0,0,1]
	s_mov_b32 s4, 0xbb29b1e1
	v_pk_add_f16 v28, v28, v36
	s_mov_b32 s16, 0x3722bbdd
	v_pk_mul_f16 v36, v56, s4 op_sel_hi:[0,1]
	;; [unrolled: 5-line block ×4, first 2 shown]
	v_pk_fma_f16 v39, v59, s18, v38 op_sel_hi:[0,1,1] neg_lo:[0,0,1] neg_hi:[0,0,1]
	s_mov_b32 s4, 0x3964ba62
	v_add_f16_e32 v40, v19, v20
	v_pk_add_f16 v28, v28, v39
	v_pk_mul_f16 v39, v41, s4 op_sel_hi:[0,1]
	s_mov_b32 s4, 0xb461
	v_mul_f16_e32 v74, 0xbbb2, v41
	s_mov_b32 s5, 0xba62b1e1
	v_fma_f16 v75, v40, s4, -v74
	s_mov_b32 s4, 0xb8d2bbdd
	v_pk_mul_f16 v76, v43, s5 op_sel_hi:[0,1]
	v_mul_f16_e32 v61, 0xbacd, v49
	v_add_f16_e32 v29, v75, v29
	v_pk_mul_f16 v75, v49, s4 op_sel_hi:[0,1]
	v_pk_fma_f16 v77, v49, s4, v76 op_sel_hi:[0,1,1] neg_lo:[0,0,1] neg_hi:[0,0,1]
	s_mov_b32 s4, 0xb4613b76
	s_mov_b32 s5, 0x3bb235c8
	v_mul_f16_e32 v63, 0x3722, v50
	v_pk_mul_f16 v78, v50, s4 op_sel_hi:[0,1]
	v_pk_mul_f16 v79, v42, s5 op_sel_hi:[0,1]
	v_pack_b32_f16 v61, v61, v75
	v_pack_b32_f16 v62, v62, v76
	v_pk_add_f16 v77, v4, v77 op_sel_hi:[0,1]
	v_pk_fma_f16 v80, v50, s4, v79 op_sel_hi:[0,1,1] neg_lo:[0,0,1] neg_hi:[0,0,1]
	s_mov_b32 s4, 0x3b76bacd
	s_mov_b32 s5, 0xb5c8b836
	v_pk_add_f16 v61, v61, v62
	v_pack_b32_f16 v62, v63, v78
	v_pack_b32_f16 v63, v64, v79
	v_mul_f16_e32 v30, 0x2de8, v51
	v_pk_add_f16 v77, v77, v80
	v_pk_mul_f16 v80, v51, s4 op_sel_hi:[0,1]
	v_pk_mul_f16 v81, v52, s5 op_sel_hi:[0,1]
	v_pk_add_f16 v61, v4, v61 op_sel_hi:[0,1]
	v_pk_add_f16 v62, v62, v63
	v_pk_fma_f16 v82, v51, s4, v81 op_sel_hi:[0,1,1] neg_lo:[0,0,1] neg_hi:[0,0,1]
	s_mov_b32 s4, 0xbacd39e9
	s_mov_b32 s5, 0xb8363964
	v_pk_add_f16 v61, v61, v62
	v_pack_b32_f16 v30, v30, v80
	v_pack_b32_f16 v62, v65, v81
	v_mul_f16_e32 v66, 0xb8d2, v53
	v_pk_add_f16 v77, v77, v82
	v_pk_mul_f16 v82, v53, s4 op_sel_hi:[0,1]
	v_pk_mul_f16 v83, v54, s5 op_sel_hi:[0,1]
	v_pk_add_f16 v30, v30, v62
	v_pk_fma_f16 v84, v53, s4, v83 op_sel_hi:[0,1,1] neg_lo:[0,0,1] neg_hi:[0,0,1]
	s_mov_b32 s4, 0x2de8b8d2
	s_mov_b32 s5, 0x3bf7ba62
	v_pk_add_f16 v30, v61, v30
	v_pack_b32_f16 v61, v66, v82
	v_pack_b32_f16 v62, v67, v83
	v_mul_f16_e32 v68, 0x3b76, v55
	v_pk_add_f16 v77, v77, v84
	v_pk_mul_f16 v84, v55, s4 op_sel_hi:[0,1]
	v_pk_mul_f16 v85, v56, s5 op_sel_hi:[0,1]
	v_pk_add_f16 v61, v61, v62
	v_pk_fma_f16 v86, v55, s4, v85 op_sel_hi:[0,1,1] neg_lo:[0,0,1] neg_hi:[0,0,1]
	s_mov_b32 s4, 0x39e93722
	s_mov_b32 s5, 0xb9643b29
	v_pk_add_f16 v30, v30, v61
	v_pack_b32_f16 v61, v68, v84
	v_pack_b32_f16 v62, v69, v85
	v_mul_f16_e32 v7, 0xbbdd, v57
	v_pk_add_f16 v77, v77, v86
	v_pk_mul_f16 v86, v57, s4 op_sel_hi:[0,1]
	v_pk_mul_f16 v87, v58, s5 op_sel_hi:[0,1]
	v_pk_add_f16 v61, v61, v62
	v_pk_fma_f16 v88, v57, s4, v87 op_sel_hi:[0,1,1] neg_lo:[0,0,1] neg_hi:[0,0,1]
	s_mov_b32 s4, 0xbbddb461
	s_mov_b32 s5, 0xb1e1bbb2
	v_pk_add_f16 v30, v30, v61
	v_pack_b32_f16 v7, v7, v86
	v_pack_b32_f16 v61, v70, v87
	v_mul_f16_e32 v71, 0x39e9, v59
	s_mov_b32 s19, 0x39e9b8d2
	v_pk_add_f16 v77, v88, v77
	v_pk_mul_f16 v88, v59, s4 op_sel_hi:[0,1]
	v_pk_mul_f16 v89, v60, s5 op_sel_hi:[0,1]
	v_pk_add_f16 v7, v7, v61
	v_pk_fma_f16 v73, v40, s19, v39 op_sel_hi:[0,1,1] neg_lo:[0,0,1] neg_hi:[0,0,1]
	v_pk_fma_f16 v90, v59, s4, v89 op_sel_hi:[0,1,1] neg_lo:[0,0,1] neg_hi:[0,0,1]
	s_mov_b32 s4, 0x37222de8
	s_mov_b32 s5, 0x3b293bf7
	v_pk_add_f16 v7, v7, v30
	v_pack_b32_f16 v30, v71, v88
	v_pack_b32_f16 v61, v72, v89
	v_pk_add_f16 v28, v73, v28
	v_mul_f16_e32 v73, 0xb461, v40
	v_pk_add_f16 v77, v77, v90
	v_pk_mul_f16 v90, v40, s4 op_sel_hi:[0,1]
	v_pk_mul_f16 v91, v41, s5 op_sel_hi:[0,1]
	v_pk_add_f16 v30, v30, v61
	v_pk_add_f16 v7, v7, v30
	v_pack_b32_f16 v30, v73, v90
	v_pack_b32_f16 v61, v74, v91
	v_pk_fma_f16 v92, v40, s4, v91 op_sel_hi:[0,1,1] neg_lo:[0,0,1] neg_hi:[0,0,1]
	v_pk_add_f16 v30, v30, v61
	v_pk_add_f16 v7, v30, v7
	;; [unrolled: 1-line block ×3, first 2 shown]
	s_waitcnt lgkmcnt(0)
	s_barrier
	s_and_saveexec_b64 s[4:5], s[2:3]
	s_cbranch_execz .LBB0_19
; %bb.18:
	v_add_f16_e32 v6, v4, v6
	v_add_f16_e32 v6, v6, v13
	;; [unrolled: 1-line block ×14, first 2 shown]
	v_pack_b32_f16 v61, v49, v49
	v_pack_b32_f16 v62, v43, v43
	v_pk_mul_f16 v78, v49, s6 op_sel_hi:[0,1]
	v_add_f16_e32 v6, v22, v6
	s_mov_b32 s3, 0x39e93b76
	s_mov_b32 s6, 0xb964b5c8
	v_pack_b32_f16 v65, v42, v42
	v_add_f16_e32 v13, v27, v6
	v_mul_f16_e32 v16, 0xba62, v42
	v_pk_mul_f16 v27, v61, s3
	v_pk_mul_f16 v42, v62, s6
	s_mov_b32 s2, 0x5040100
	v_mul_f16_e32 v14, 0xbb29, v43
	v_sub_f16_e32 v43, v27, v42
	v_perm_b32 v63, v4, v4, s2
	v_pack_b32_f16 v64, v50, v50
	v_add_f16_e32 v4, v4, v43
	v_pk_fma_f16 v43, v61, s3, v42
	s_mov_b32 s3, 0x2de839e9
	s_mov_b32 s6, 0xbbf7b964
	v_pk_mul_f16 v79, v50, s7 op_sel_hi:[0,1]
	v_mul_f16_e32 v6, 0x3722, v49
	v_mul_f16_e32 v15, 0xb8d2, v50
	v_pk_mul_f16 v49, v64, s3
	v_pk_mul_f16 v50, v65, s6
	v_pack_b32_f16 v66, v51, v51
	v_pk_mul_f16 v80, v51, s10 op_sel_hi:[0,1]
	v_mul_f16_e32 v17, 0xbbdd, v51
	v_sub_f16_e32 v51, v49, v50
	v_pack_b32_f16 v67, v52, v52
	v_pk_add_f16 v43, v63, v43
	v_add_f16_e32 v4, v4, v51
	v_pk_fma_f16 v51, v64, s3, v50
	s_mov_b32 s3, 0xb8d23722
	s_mov_b32 s6, 0xba62bb29
	v_mul_f16_e32 v18, 0x31e1, v52
	v_pk_add_f16 v43, v43, v51
	v_pk_mul_f16 v51, v66, s3
	v_pk_mul_f16 v52, v67, s6
	v_pack_b32_f16 v68, v53, v53
	v_pk_mul_f16 v81, v53, s11 op_sel_hi:[0,1]
	v_mul_f16_e32 v19, 0xb461, v53
	v_sub_f16_e32 v53, v51, v52
	v_pack_b32_f16 v69, v54, v54
	v_add_f16_e32 v4, v4, v53
	v_pk_fma_f16 v53, v66, s3, v52
	s_mov_b32 s3, 0xbbdd2de8
	s_mov_b32 s6, 0xb1e1bbf7
	v_mul_f16_e32 v20, 0x3bb2, v54
	v_pk_add_f16 v43, v43, v53
	v_pk_mul_f16 v53, v68, s3
	v_pk_mul_f16 v54, v69, s6
	v_pack_b32_f16 v70, v55, v55
	v_pk_mul_f16 v82, v55, s16 op_sel_hi:[0,1]
	v_mul_f16_e32 v21, 0x39e9, v55
	v_sub_f16_e32 v55, v53, v54
	v_pack_b32_f16 v71, v56, v56
	;; [unrolled: 13-line block ×4, first 2 shown]
	v_add_f16_e32 v4, v59, v4
	v_pk_fma_f16 v59, v72, s3, v58
	s_mov_b32 s3, 0x3722bacd
	s_mov_b32 s6, 0x3b29b836
	v_mul_f16_e32 v26, 0xbbf7, v60
	v_pk_add_f16 v43, v59, v43
	v_pk_mul_f16 v59, v74, s3
	v_pk_mul_f16 v60, v75, s6
	v_pack_b32_f16 v77, v41, v41
	v_sub_f16_e32 v86, v59, v60
	s_mov_b32 s6, 0x35c8b1e1
	v_pack_b32_f16 v76, v40, v40
	v_add_f16_e32 v4, v4, v86
	v_pk_fma_f16 v86, v74, s3, v60
	s_mov_b32 s3, 0x3b76bbdd
	v_pk_mul_f16 v87, v77, s6
	v_pk_add_f16 v43, v43, v86
	v_pk_mul_f16 v86, v76, s3
	v_pk_fma_f16 v88, v76, s3, v87
	s_mov_b32 s3, 0xffff
	v_bfi_b32 v27, s3, v6, v27
	v_bfi_b32 v6, s3, v6, v78
	;; [unrolled: 1-line block ×4, first 2 shown]
	v_pk_add_f16 v5, v6, v5
	v_bfi_b32 v6, s3, v15, v79
	v_bfi_b32 v14, s3, v16, v31
	v_sub_f16_e32 v89, v86, v87
	v_pk_add_f16 v5, v63, v5
	v_pk_add_f16 v6, v6, v14
	v_add_f16_e32 v89, v89, v4
	v_pk_add_f16 v4, v88, v43
	v_pk_add_f16 v27, v27, v42 neg_lo:[0,1] neg_hi:[0,1]
	v_bfi_b32 v42, s3, v15, v49
	v_bfi_b32 v43, s3, v16, v50
	v_pk_add_f16 v5, v5, v6
	v_bfi_b32 v6, s3, v17, v80
	v_bfi_b32 v14, s3, v18, v33
	v_pk_add_f16 v27, v63, v27
	v_pk_add_f16 v42, v42, v43 neg_lo:[0,1] neg_hi:[0,1]
	v_pk_add_f16 v6, v6, v14
	v_pk_add_f16 v27, v27, v42
	v_bfi_b32 v42, s3, v17, v51
	v_bfi_b32 v43, s3, v18, v52
	v_pk_add_f16 v5, v5, v6
	v_bfi_b32 v6, s3, v19, v81
	v_bfi_b32 v14, s3, v20, v35
	v_pk_add_f16 v42, v42, v43 neg_lo:[0,1] neg_hi:[0,1]
	v_pk_add_f16 v6, v6, v14
	v_pk_add_f16 v27, v27, v42
	v_bfi_b32 v42, s3, v19, v53
	v_bfi_b32 v43, s3, v20, v54
	v_pk_add_f16 v5, v5, v6
	v_bfi_b32 v6, s3, v21, v82
	v_bfi_b32 v14, s3, v22, v36
	;; [unrolled: 8-line block ×4, first 2 shown]
	v_pk_mul_f16 v85, v40, s19 op_sel_hi:[0,1]
	v_mul_f16_e32 v40, 0xbacd, v40
	v_mul_f16_e32 v41, 0xb836, v41
	v_pk_add_f16 v42, v42, v43 neg_lo:[0,1] neg_hi:[0,1]
	v_pk_add_f16 v6, v6, v14
	v_pk_add_f16 v27, v42, v27
	v_bfi_b32 v42, s3, v25, v59
	v_bfi_b32 v43, s3, v26, v60
	v_pk_add_f16 v5, v5, v6
	v_bfi_b32 v6, s3, v40, v85
	v_bfi_b32 v14, s3, v41, v39
	v_pk_add_f16 v42, v42, v43 neg_lo:[0,1] neg_hi:[0,1]
	v_pk_add_f16 v6, v6, v14
	s_mov_b32 s6, 0xba62bbb2
	v_pk_add_f16 v27, v27, v42
	v_bfi_b32 v42, s3, v40, v86
	v_bfi_b32 v43, s3, v41, v87
	v_pk_add_f16 v5, v6, v5
	s_mov_b32 s3, 0xb8d2b461
	v_pk_mul_f16 v6, v62, s6
	s_mov_b32 s6, 0x3bb23836
	v_pk_fma_f16 v6, v61, s3, v6
	s_mov_b32 s3, 0xb461bacd
	v_pk_mul_f16 v14, v65, s6
	v_pk_add_f16 v6, v63, v6
	v_pk_fma_f16 v14, v64, s3, v14
	s_mov_b32 s6, 0xb5c83964
	v_pk_add_f16 v6, v6, v14
	s_mov_b32 s3, 0x3b7639e9
	v_pk_mul_f16 v14, v67, s6
	v_pk_fma_f16 v14, v66, s3, v14
	s_mov_b32 s6, 0xb836bb29
	v_pk_add_f16 v6, v6, v14
	s_mov_b32 s3, 0xbacd3722
	v_pk_mul_f16 v14, v69, s6
	;; [unrolled: 5-line block ×5, first 2 shown]
	v_pk_fma_f16 v14, v74, s3, v14
	s_mov_b32 s6, 0x3b29ba62
	v_pk_add_f16 v42, v42, v43 neg_lo:[0,1] neg_hi:[0,1]
	v_pk_add_f16 v6, v6, v14
	s_mov_b32 s3, 0x3722b8d2
	v_pk_mul_f16 v14, v77, s6
	v_pk_add_f16 v27, v42, v27
	v_pk_fma_f16 v14, v76, s3, v14
	v_lshl_add_u32 v17, v11, 5, v0
	v_pk_add_f16 v6, v14, v6
	ds_write_b16 v17, v13
	ds_write_b128 v17, v[4:7] offset:2
	v_alignbit_b32 v16, v89, v27, 16
	v_alignbit_b32 v15, v27, v28, 16
	v_perm_b32 v13, v29, v30, s2
	v_alignbit_b32 v14, v28, v30, 16
	ds_write_b128 v17, v[13:16] offset:18
.LBB0_19:
	s_or_b64 exec, exec, s[4:5]
	s_waitcnt lgkmcnt(0)
	s_barrier
	ds_read_u16 v6, v0
	ds_read_u16 v19, v0 offset:374
	ds_read_u16 v18, v0 offset:748
	;; [unrolled: 1-line block ×6, first 2 shown]
	v_lshrrev_b32_e32 v16, 16, v7
	s_and_saveexec_b64 s[2:3], s[0:1]
	s_cbranch_execz .LBB0_21
; %bb.20:
	ds_read_u16 v7, v0 offset:238
	ds_read_u16 v16, v0 offset:612
	;; [unrolled: 1-line block ×7, first 2 shown]
	s_mov_b32 s4, 0x5040100
	s_waitcnt lgkmcnt(3)
	v_perm_b32 v30, v5, v4, s4
	s_waitcnt lgkmcnt(1)
	v_perm_b32 v28, v21, v20, s4
.LBB0_21:
	s_or_b64 exec, exec, s[2:3]
	s_movk_i32 s2, 0xf1
	v_mul_lo_u16_sdwa v4, v11, s2 dst_sel:DWORD dst_unused:UNUSED_PAD src0_sel:BYTE_0 src1_sel:DWORD
	v_lshrrev_b16_e32 v43, 12, v4
	v_mul_lo_u16_e32 v4, 17, v43
	v_sub_u16_e32 v49, v11, v4
	v_mov_b32_e32 v24, 6
	v_mul_u32_u24_sdwa v4, v49, v24 dst_sel:DWORD dst_unused:UNUSED_PAD src0_sel:BYTE_0 src1_sel:DWORD
	v_add_u16_e32 v25, 0x77, v11
	v_lshlrev_b32_e32 v5, 2, v4
	v_mul_lo_u16_sdwa v4, v25, s2 dst_sel:DWORD dst_unused:UNUSED_PAD src0_sel:BYTE_0 src1_sel:DWORD
	v_lshrrev_b16_e32 v4, 12, v4
	v_mul_lo_u16_e32 v26, 17, v4
	global_load_dwordx4 v[20:23], v5, s[8:9]
	global_load_dwordx2 v[39:40], v5, s[8:9] offset:16
	v_sub_u16_e32 v5, v25, v26
	v_mul_u32_u24_sdwa v24, v5, v24 dst_sel:DWORD dst_unused:UNUSED_PAD src0_sel:BYTE_0 src1_sel:DWORD
	v_lshlrev_b32_e32 v31, 2, v24
	global_load_dwordx4 v[24:27], v31, s[8:9]
	global_load_dwordx2 v[41:42], v31, s[8:9] offset:16
	v_lshrrev_b32_e32 v50, 16, v3
	v_lshrrev_b32_e32 v51, 16, v32
	;; [unrolled: 1-line block ×5, first 2 shown]
	s_movk_i32 s4, 0x2b26
	s_mov_b32 s6, 0xbcab
	s_mov_b32 s10, 0xb9e0
	;; [unrolled: 1-line block ×3, first 2 shown]
	s_movk_i32 s5, 0x3b00
	s_movk_i32 s7, 0x39e0
	;; [unrolled: 1-line block ×4, first 2 shown]
	s_waitcnt vmcnt(0) lgkmcnt(0)
	s_barrier
	v_mul_f16_sdwa v31, v19, v20 dst_sel:DWORD dst_unused:UNUSED_PAD src0_sel:DWORD src1_sel:WORD_1
	v_mul_f16_sdwa v33, v48, v20 dst_sel:DWORD dst_unused:UNUSED_PAD src0_sel:DWORD src1_sel:WORD_1
	;; [unrolled: 1-line block ×21, first 2 shown]
	v_fma_f16 v31, v48, v20, -v31
	v_fma_f16 v35, v19, v20, v33
	v_fma_f16 v33, v47, v21, -v36
	v_fma_f16 v36, v18, v21, v37
	v_fma_f16 v18, v46, v22, -v38
	v_fma_f16 v38, v44, v39, -v58
	;; [unrolled: 1-line block ×3, first 2 shown]
	v_mul_f16_sdwa v71, v32, v41 dst_sel:DWORD dst_unused:UNUSED_PAD src0_sel:DWORD src1_sel:WORD_1
	v_fma_f16 v17, v17, v22, v55
	v_fma_f16 v37, v45, v23, -v56
	v_fma_f16 v15, v15, v23, v57
	v_fma_f16 v14, v14, v39, v59
	v_fma_f16 v13, v13, v40, v61
	v_fma_f16 v19, v50, v24, -v62
	v_fma_f16 v22, v16, v24, v63
	v_fma_f16 v20, v34, v25, -v64
	v_fma_f16 v23, v30, v25, v65
	;; [unrolled: 2-line block ×4, first 2 shown]
	v_fma_f16 v27, v32, v41, -v70
	v_add_f16_e32 v12, v31, v2
	v_add_f16_e32 v32, v33, v38
	v_mul_f16_sdwa v72, v54, v42 dst_sel:DWORD dst_unused:UNUSED_PAD src0_sel:DWORD src1_sel:WORD_1
	v_mul_f16_sdwa v73, v53, v42 dst_sel:DWORD dst_unused:UNUSED_PAD src0_sel:DWORD src1_sel:WORD_1
	v_fma_f16 v28, v28, v41, v71
	v_sub_f16_e32 v16, v35, v13
	v_sub_f16_e32 v34, v36, v14
	v_add_f16_e32 v39, v18, v37
	v_sub_f16_e32 v40, v15, v17
	v_add_f16_e32 v41, v32, v12
	v_fma_f16 v29, v53, v42, -v72
	v_fma_f16 v30, v54, v42, v73
	v_sub_f16_e32 v42, v32, v12
	v_sub_f16_e32 v12, v12, v39
	;; [unrolled: 1-line block ×3, first 2 shown]
	v_add_f16_e32 v44, v40, v34
	v_sub_f16_e32 v45, v40, v34
	v_sub_f16_e32 v34, v34, v16
	v_add_f16_e32 v39, v39, v41
	v_sub_f16_e32 v40, v16, v40
	v_add_f16_e32 v16, v44, v16
	v_mul_f16_e32 v12, 0x3a52, v12
	v_mul_f16_e32 v44, 0xb846, v45
	v_add_f16_e32 v45, v1, v39
	v_mul_f16_e32 v1, 0x3b00, v34
	v_mul_f16_e32 v41, 0x2b26, v32
	v_fma_f16 v39, v39, s6, v45
	v_fma_f16 v32, v32, s4, v12
	v_fma_f16 v12, v42, s10, -v12
	v_fma_f16 v1, v40, s17, -v1
	;; [unrolled: 1-line block ×3, first 2 shown]
	v_fma_f16 v42, v40, s11, v44
	v_fma_f16 v34, v34, s5, -v44
	v_add_f16_e32 v12, v12, v39
	v_fma_f16 v1, v16, s16, v1
	v_add_f16_e32 v32, v32, v39
	v_add_f16_e32 v40, v41, v39
	v_fma_f16 v39, v16, s16, v42
	v_fma_f16 v34, v16, s16, v34
	v_add_f16_e32 v41, v1, v12
	v_sub_f16_e32 v12, v12, v1
	v_mov_b32_e32 v1, 1
	v_add_f16_e32 v16, v39, v32
	v_sub_f16_e32 v42, v40, v34
	v_add_f16_e32 v34, v34, v40
	v_sub_f16_e32 v39, v32, v39
	v_mul_u32_u24_e32 v32, 0xee, v43
	v_lshlrev_b32_sdwa v40, v1, v49 dst_sel:DWORD dst_unused:UNUSED_PAD src0_sel:DWORD src1_sel:BYTE_0
	v_add3_u32 v32, 0, v32, v40
	ds_write_b16 v32, v45
	ds_write_b16 v32, v16 offset:34
	ds_write_b16 v32, v41 offset:68
	;; [unrolled: 1-line block ×6, first 2 shown]
	s_and_saveexec_b64 s[2:3], s[0:1]
	s_cbranch_execz .LBB0_23
; %bb.22:
	v_add_f16_e32 v12, v19, v29
	v_add_f16_e32 v39, v20, v27
	;; [unrolled: 1-line block ×4, first 2 shown]
	v_sub_f16_e32 v43, v26, v24
	v_sub_f16_e32 v45, v23, v28
	;; [unrolled: 1-line block ×4, first 2 shown]
	v_add_f16_e32 v16, v16, v42
	v_sub_f16_e32 v42, v22, v30
	v_sub_f16_e32 v46, v43, v45
	v_mul_f16_e32 v34, 0x3a52, v34
	v_mul_f16_e32 v41, 0x2b26, v40
	v_add_f16_e32 v3, v3, v16
	v_sub_f16_e32 v44, v42, v43
	v_mul_f16_e32 v46, 0xb846, v46
	v_add_f16_e32 v43, v43, v45
	v_sub_f16_e32 v12, v39, v12
	v_sub_f16_e32 v39, v45, v42
	v_fma_f16 v40, v40, s4, v34
	v_fma_f16 v16, v16, s6, v3
	;; [unrolled: 1-line block ×3, first 2 shown]
	v_add_f16_e32 v43, v43, v42
	v_fma_f16 v34, v12, s10, -v34
	v_mul_f16_e32 v42, 0x3b00, v39
	v_fma_f16 v39, v39, s5, -v46
	v_fma_f16 v12, v12, s7, -v41
	v_add_f16_e32 v40, v40, v16
	v_fma_f16 v47, v43, s16, v47
	v_fma_f16 v39, v43, s16, v39
	v_add_f16_e32 v12, v12, v16
	v_sub_f16_e32 v48, v40, v47
	v_add_f16_e32 v34, v34, v16
	v_fma_f16 v42, v44, s17, -v42
	v_add_f16_e32 v16, v39, v12
	v_sub_f16_e32 v12, v12, v39
	v_add_f16_e32 v39, v47, v40
	v_mul_u32_u24_e32 v40, 0xee, v4
	v_lshlrev_b32_sdwa v1, v1, v5 dst_sel:DWORD dst_unused:UNUSED_PAD src0_sel:DWORD src1_sel:BYTE_0
	v_fma_f16 v42, v43, s16, v42
	v_add3_u32 v1, 0, v40, v1
	v_sub_f16_e32 v44, v34, v42
	v_add_f16_e32 v34, v42, v34
	ds_write_b16 v1, v3
	ds_write_b16 v1, v39 offset:34
	ds_write_b16 v1, v34 offset:68
	;; [unrolled: 1-line block ×6, first 2 shown]
.LBB0_23:
	s_or_b64 exec, exec, s[2:3]
	v_add_f16_e32 v1, v35, v13
	v_add_f16_e32 v3, v36, v14
	v_sub_f16_e32 v2, v31, v2
	v_sub_f16_e32 v12, v33, v38
	v_add_f16_e32 v13, v17, v15
	v_sub_f16_e32 v14, v37, v18
	v_add_f16_e32 v15, v3, v1
	v_sub_f16_e32 v16, v3, v1
	v_sub_f16_e32 v1, v1, v13
	;; [unrolled: 1-line block ×3, first 2 shown]
	v_add_f16_e32 v17, v14, v12
	v_sub_f16_e32 v18, v14, v12
	v_sub_f16_e32 v12, v12, v2
	v_add_f16_e32 v13, v13, v15
	v_sub_f16_e32 v14, v2, v14
	v_add_f16_e32 v2, v17, v2
	v_add_f16_e32 v31, v6, v13
	v_mul_f16_e32 v1, 0x3a52, v1
	v_mul_f16_e32 v6, 0x2b26, v3
	v_mul_f16_e32 v15, 0xb846, v18
	v_mul_f16_e32 v17, 0x3b00, v12
	v_fma_f16 v13, v13, s6, v31
	v_fma_f16 v3, v3, s4, v1
	v_fma_f16 v6, v16, s7, -v6
	v_fma_f16 v1, v16, s10, -v1
	v_fma_f16 v16, v14, s11, v15
	v_fma_f16 v12, v12, s5, -v15
	v_fma_f16 v14, v14, s17, -v17
	v_add_f16_e32 v3, v3, v13
	v_add_f16_e32 v6, v6, v13
	;; [unrolled: 1-line block ×3, first 2 shown]
	v_fma_f16 v13, v2, s16, v16
	v_fma_f16 v12, v2, s16, v12
	;; [unrolled: 1-line block ×3, first 2 shown]
	v_sub_f16_e32 v33, v3, v13
	v_sub_f16_e32 v34, v1, v2
	v_add_f16_e32 v35, v12, v6
	v_sub_f16_e32 v36, v6, v12
	v_add_f16_e32 v37, v2, v1
	v_add_f16_e32 v38, v13, v3
	s_waitcnt lgkmcnt(0)
	s_barrier
	ds_read_u16 v1, v0
	ds_read_u16 v16, v0 offset:238
	ds_read_u16 v14, v0 offset:476
	;; [unrolled: 1-line block ×10, first 2 shown]
	s_waitcnt lgkmcnt(0)
	s_barrier
	ds_write_b16 v32, v31
	ds_write_b16 v32, v33 offset:34
	ds_write_b16 v32, v34 offset:68
	;; [unrolled: 1-line block ×6, first 2 shown]
	s_and_saveexec_b64 s[2:3], s[0:1]
	s_cbranch_execz .LBB0_25
; %bb.24:
	v_add_f16_e32 v22, v22, v30
	v_add_f16_e32 v23, v23, v28
	v_add_f16_e32 v24, v24, v26
	v_sub_f16_e32 v21, v25, v21
	v_add_f16_e32 v25, v23, v22
	v_sub_f16_e32 v26, v23, v22
	v_sub_f16_e32 v22, v22, v24
	;; [unrolled: 1-line block ×3, first 2 shown]
	v_mul_f16_e32 v22, 0x3a52, v22
	s_movk_i32 s0, 0x2b26
	v_sub_f16_e32 v20, v20, v27
	v_add_f16_e32 v24, v24, v25
	v_mul_f16_e32 v25, 0x2b26, v23
	v_fma_f16 v23, v23, s0, v22
	s_movk_i32 s0, 0x39e0
	v_sub_f16_e32 v19, v19, v29
	v_add_f16_e32 v27, v21, v20
	v_sub_f16_e32 v28, v21, v20
	v_fma_f16 v25, v26, s0, -v25
	s_mov_b32 s0, 0xb9e0
	v_sub_f16_e32 v21, v19, v21
	v_sub_f16_e32 v20, v20, v19
	v_add_f16_e32 v19, v27, v19
	v_mul_f16_e32 v27, 0xb846, v28
	v_fma_f16 v22, v26, s0, -v22
	s_movk_i32 s0, 0x3574
	v_add_f16_e32 v7, v7, v24
	s_movk_i32 s1, 0x3b00
	v_mul_f16_e32 v28, 0x3b00, v20
	s_mov_b32 s4, 0xbcab
	v_fma_f16 v26, v21, s0, v27
	s_mov_b32 s0, 0xb574
	v_fma_f16 v24, v24, s4, v7
	v_fma_f16 v20, v20, s1, -v27
	v_fma_f16 v21, v21, s0, -v28
	s_movk_i32 s0, 0x370e
	v_add_f16_e32 v23, v23, v24
	v_add_f16_e32 v25, v25, v24
	;; [unrolled: 1-line block ×3, first 2 shown]
	v_fma_f16 v24, v19, s0, v26
	v_fma_f16 v20, v19, s0, v20
	;; [unrolled: 1-line block ×3, first 2 shown]
	v_sub_f16_e32 v21, v23, v24
	v_sub_f16_e32 v26, v22, v19
	v_add_f16_e32 v19, v19, v22
	v_add_f16_e32 v22, v24, v23
	v_mov_b32_e32 v23, 1
	v_mul_u32_u24_e32 v4, 0xee, v4
	v_lshlrev_b32_sdwa v5, v23, v5 dst_sel:DWORD dst_unused:UNUSED_PAD src0_sel:DWORD src1_sel:BYTE_0
	v_add3_u32 v4, 0, v4, v5
	v_add_f16_e32 v27, v20, v25
	v_sub_f16_e32 v20, v25, v20
	ds_write_b16 v4, v7
	ds_write_b16 v4, v21 offset:34
	ds_write_b16 v4, v26 offset:68
	;; [unrolled: 1-line block ×6, first 2 shown]
.LBB0_25:
	s_or_b64 exec, exec, s[2:3]
	s_waitcnt lgkmcnt(0)
	s_barrier
	s_and_saveexec_b64 s[0:1], vcc
	s_cbranch_execz .LBB0_27
; %bb.26:
	v_mul_u32_u24_e32 v4, 10, v11
	v_lshlrev_b32_e32 v7, 2, v4
	global_load_dwordx2 v[4:5], v7, s[8:9] offset:440
	global_load_dwordx4 v[19:22], v7, s[8:9] offset:408
	global_load_dwordx4 v[23:26], v7, s[8:9] offset:424
	ds_read_u16 v7, v0 offset:476
	ds_read_u16 v11, v0 offset:714
	;; [unrolled: 1-line block ×7, first 2 shown]
	ds_read_u16 v32, v0
	ds_read_u16 v33, v0 offset:2380
	ds_read_u16 v34, v0 offset:2142
	;; [unrolled: 1-line block ×3, first 2 shown]
	s_movk_i32 s5, 0x3b47
	s_movk_i32 s9, 0x3a0c
	s_mov_b32 s8, 0xb482
	s_mov_b32 s6, 0xbbeb
	;; [unrolled: 1-line block ×3, first 2 shown]
	s_movk_i32 s0, 0x36a6
	s_mov_b32 s1, 0xb93d
	s_mov_b32 s2, 0xbbad
	;; [unrolled: 1-line block ×3, first 2 shown]
	s_movk_i32 s4, 0x3abb
	s_movk_i32 s17, 0x3beb
	s_mov_b32 s10, 0xbb47
	s_movk_i32 s18, 0x3853
	s_movk_i32 s16, 0x3482
	s_mov_b32 s11, 0xba0c
	s_waitcnt vmcnt(2)
	v_mul_f16_sdwa v35, v18, v5 dst_sel:DWORD dst_unused:UNUSED_PAD src0_sel:DWORD src1_sel:WORD_1
	s_waitcnt vmcnt(1)
	v_mul_f16_sdwa v36, v16, v19 dst_sel:DWORD dst_unused:UNUSED_PAD src0_sel:DWORD src1_sel:WORD_1
	s_waitcnt lgkmcnt(4)
	v_mul_f16_sdwa v37, v31, v19 dst_sel:DWORD dst_unused:UNUSED_PAD src0_sel:DWORD src1_sel:WORD_1
	s_waitcnt lgkmcnt(2)
	v_mul_f16_sdwa v38, v33, v5 dst_sel:DWORD dst_unused:UNUSED_PAD src0_sel:DWORD src1_sel:WORD_1
	v_mul_f16_sdwa v39, v17, v4 dst_sel:DWORD dst_unused:UNUSED_PAD src0_sel:DWORD src1_sel:WORD_1
	;; [unrolled: 1-line block ×5, first 2 shown]
	v_fma_f16 v33, v33, v5, v35
	v_fma_f16 v31, v31, v19, v36
	v_mul_f16_sdwa v41, v7, v20 dst_sel:DWORD dst_unused:UNUSED_PAD src0_sel:DWORD src1_sel:WORD_1
	s_waitcnt lgkmcnt(1)
	v_mul_f16_sdwa v42, v34, v4 dst_sel:DWORD dst_unused:UNUSED_PAD src0_sel:DWORD src1_sel:WORD_1
	s_waitcnt vmcnt(0)
	v_mul_f16_sdwa v43, v15, v26 dst_sel:DWORD dst_unused:UNUSED_PAD src0_sel:DWORD src1_sel:WORD_1
	v_mul_f16_sdwa v44, v13, v21 dst_sel:DWORD dst_unused:UNUSED_PAD src0_sel:DWORD src1_sel:WORD_1
	;; [unrolled: 1-line block ×7, first 2 shown]
	v_fma_f16 v16, v16, v19, -v37
	v_fma_f16 v5, v18, v5, -v38
	v_fma_f16 v18, v34, v4, v39
	v_fma_f16 v7, v7, v20, v40
	;; [unrolled: 1-line block ×3, first 2 shown]
	v_fma_f16 v6, v6, v22, -v49
	v_add_f16_e32 v22, v33, v31
	s_waitcnt lgkmcnt(0)
	v_mul_f16_sdwa v46, v0, v26 dst_sel:DWORD dst_unused:UNUSED_PAD src0_sel:DWORD src1_sel:WORD_1
	v_mul_f16_sdwa v47, v12, v25 dst_sel:DWORD dst_unused:UNUSED_PAD src0_sel:DWORD src1_sel:WORD_1
	;; [unrolled: 1-line block ×3, first 2 shown]
	v_fma_f16 v14, v14, v20, -v41
	v_fma_f16 v4, v17, v4, -v42
	v_fma_f16 v0, v0, v26, v43
	v_fma_f16 v11, v11, v21, v44
	v_fma_f16 v13, v13, v21, -v45
	v_fma_f16 v20, v29, v24, v51
	v_fma_f16 v21, v30, v23, v52
	v_fma_f16 v2, v2, v23, -v53
	v_fma_f16 v3, v3, v24, -v54
	v_sub_f16_e32 v23, v16, v5
	v_add_f16_e32 v24, v18, v7
	v_mul_f16_e32 v36, 0x36a6, v22
	v_fma_f16 v15, v15, v26, -v46
	v_fma_f16 v17, v28, v25, v47
	v_fma_f16 v12, v12, v25, -v50
	v_sub_f16_e32 v25, v14, v4
	v_add_f16_e32 v26, v0, v11
	v_mul_f16_e32 v37, 0xb93d, v24
	v_fma_f16 v41, v23, s5, v36
	v_sub_f16_e32 v27, v13, v15
	v_add_f16_e32 v28, v17, v19
	v_mul_f16_e32 v38, 0xbbad, v26
	v_fma_f16 v42, v25, s9, v37
	v_add_f16_e32 v41, v32, v41
	v_sub_f16_e32 v29, v6, v12
	v_add_f16_e32 v30, v20, v21
	v_mul_f16_e32 v39, 0xb08e, v28
	v_fma_f16 v43, v27, s8, v38
	v_add_f16_e32 v41, v41, v42
	v_sub_f16_e32 v34, v2, v3
	v_mul_f16_e32 v40, 0x3abb, v30
	v_fma_f16 v44, v29, s6, v39
	v_add_f16_e32 v41, v41, v43
	v_sub_f16_e32 v42, v31, v33
	v_add_f16_e32 v35, v5, v16
	v_fma_f16 v45, v34, s7, v40
	v_add_f16_e32 v41, v41, v44
	v_mul_f16_e32 v43, 0xbb47, v42
	v_sub_f16_e32 v46, v7, v18
	v_add_f16_e32 v41, v41, v45
	v_fma_f16 v44, v35, s0, v43
	v_add_f16_e32 v45, v4, v14
	v_mul_f16_e32 v47, 0xba0c, v46
	v_add_f16_e32 v44, v1, v44
	v_fma_f16 v48, v45, s1, v47
	v_sub_f16_e32 v49, v11, v0
	v_add_f16_e32 v44, v44, v48
	v_add_f16_e32 v48, v15, v13
	v_mul_f16_e32 v50, 0x3482, v49
	v_fma_f16 v51, v48, s2, v50
	v_sub_f16_e32 v52, v19, v17
	v_add_f16_e32 v44, v44, v51
	v_add_f16_e32 v51, v12, v6
	v_mul_f16_e32 v53, 0x3beb, v52
	v_fma_f16 v54, v51, s3, v53
	v_sub_f16_e32 v55, v21, v20
	v_add_f16_e32 v44, v44, v54
	v_add_f16_e32 v54, v3, v2
	v_mul_f16_e32 v56, 0x3853, v55
	v_fma_f16 v57, v54, s4, v56
	v_add_f16_e32 v44, v44, v57
	v_mul_f16_e32 v57, 0xb08e, v22
	v_fma_f16 v58, v23, s17, v57
	v_mul_f16_e32 v59, 0xbbad, v24
	v_add_f16_e32 v58, v32, v58
	v_fma_f16 v60, v25, s8, v59
	v_add_f16_e32 v58, v58, v60
	v_mul_f16_e32 v60, 0x36a6, v26
	v_fma_f16 v61, v27, s10, v60
	v_add_f16_e32 v58, v58, v61
	v_mul_f16_e32 v61, 0x3abb, v28
	v_fma_f16 v62, v29, s18, v61
	v_add_f16_e32 v58, v58, v62
	v_mul_f16_e32 v62, 0xb93d, v30
	v_fma_f16 v63, v34, s9, v62
	v_add_f16_e32 v58, v58, v63
	v_mul_f16_e32 v63, 0xbbeb, v42
	v_fma_f16 v64, v35, s3, v63
	v_mul_f16_e32 v65, 0x3482, v46
	v_add_f16_e32 v64, v1, v64
	v_fma_f16 v66, v45, s2, v65
	v_add_f16_e32 v64, v64, v66
	v_mul_f16_e32 v66, 0x3b47, v49
	v_fma_f16 v67, v48, s0, v66
	v_add_f16_e32 v64, v64, v67
	v_mul_f16_e32 v67, 0xb853, v52
	;; [unrolled: 3-line block ×4, first 2 shown]
	v_fma_f16 v70, v23, s9, v69
	v_mul_f16_e32 v71, 0xb08e, v24
	v_add_f16_e32 v70, v32, v70
	v_fma_f16 v72, v25, s6, v71
	v_add_f16_e32 v70, v70, v72
	v_mul_f16_e32 v72, 0x3abb, v26
	v_fma_f16 v73, v27, s18, v72
	v_add_f16_e32 v70, v70, v73
	v_mul_f16_e32 v73, 0xbbad, v28
	v_fma_f16 v74, v29, s16, v73
	v_add_f16_e32 v16, v1, v16
	v_add_f16_e32 v70, v70, v74
	v_mul_f16_e32 v74, 0x36a6, v30
	v_add_f16_e32 v14, v16, v14
	v_fma_f16 v75, v34, s10, v74
	v_add_f16_e32 v13, v14, v13
	v_add_f16_e32 v70, v70, v75
	v_mul_f16_e32 v75, 0xba0c, v42
	v_add_f16_e32 v6, v13, v6
	v_fma_f16 v76, v35, s1, v75
	v_mul_f16_e32 v77, 0x3beb, v46
	v_add_f16_e32 v2, v6, v2
	v_add_f16_e32 v76, v1, v76
	v_fma_f16 v78, v45, s3, v77
	v_add_f16_e32 v2, v3, v2
	v_add_f16_e32 v76, v76, v78
	v_mul_f16_e32 v78, 0xb853, v49
	v_add_f16_e32 v2, v12, v2
	v_fma_f16 v79, v48, s4, v78
	v_fma_f16 v36, v23, s10, v36
	v_add_f16_e32 v2, v15, v2
	v_add_f16_e32 v76, v76, v79
	v_mul_f16_e32 v79, 0xb482, v52
	v_add_f16_e32 v36, v32, v36
	v_fma_f16 v37, v25, s11, v37
	v_add_f16_e32 v2, v4, v2
	v_fma_f16 v80, v51, s2, v79
	;; [unrolled: 2-line block ×3, first 2 shown]
	v_add_f16_e32 v4, v5, v2
	v_add_f16_e32 v2, v32, v31
	;; [unrolled: 1-line block ×3, first 2 shown]
	v_mul_f16_e32 v80, 0x3b47, v55
	v_add_f16_e32 v36, v36, v37
	v_fma_f16 v37, v29, s17, v39
	v_add_f16_e32 v2, v2, v7
	v_fma_f16 v81, v54, s0, v80
	;; [unrolled: 2-line block ×3, first 2 shown]
	v_add_f16_e32 v2, v2, v11
	v_add_f16_e32 v76, v76, v81
	v_mul_f16_e32 v81, 0xbbad, v22
	v_add_f16_e32 v36, v36, v37
	v_fma_f16 v37, v35, s0, -v43
	v_add_f16_e32 v2, v2, v19
	v_fma_f16 v82, v23, s16, v81
	v_mul_f16_e32 v83, 0x3abb, v24
	v_add_f16_e32 v37, v1, v37
	v_fma_f16 v38, v45, s1, -v47
	v_add_f16_e32 v2, v2, v21
	v_add_f16_e32 v82, v32, v82
	v_fma_f16 v84, v25, s7, v83
	v_add_f16_e32 v37, v37, v38
	v_fma_f16 v38, v48, s2, -v50
	v_add_f16_e32 v2, v20, v2
	v_add_f16_e32 v82, v82, v84
	v_mul_f16_e32 v84, 0xb93d, v26
	v_add_f16_e32 v37, v37, v38
	v_fma_f16 v38, v51, s3, -v53
	v_add_f16_e32 v2, v17, v2
	v_fma_f16 v85, v27, s9, v84
	v_fma_f16 v81, v23, s8, v81
	;; [unrolled: 1-line block ×4, first 2 shown]
	v_add_f16_e32 v37, v37, v38
	v_fma_f16 v38, v54, s4, -v56
	v_mul_f16_e32 v23, 0xb853, v23
	v_add_f16_e32 v0, v0, v2
	v_add_f16_e32 v82, v82, v85
	v_mul_f16_e32 v85, 0x36a6, v28
	v_add_f16_e32 v81, v32, v81
	v_fma_f16 v83, v25, s18, v83
	v_add_f16_e32 v69, v32, v69
	v_fma_f16 v71, v25, s17, v71
	;; [unrolled: 2-line block ×4, first 2 shown]
	v_mul_f16_e32 v25, 0xbb47, v25
	v_add_f16_e32 v0, v18, v0
	v_fma_f16 v86, v29, s10, v85
	v_add_f16_e32 v81, v81, v83
	v_fma_f16 v83, v27, s11, v84
	;; [unrolled: 2-line block ×5, first 2 shown]
	v_mul_f16_e32 v27, 0xbbeb, v27
	v_add_f16_e32 v5, v33, v0
	v_fma_f16 v0, v22, s4, -v23
	v_add_f16_e32 v82, v82, v86
	v_mul_f16_e32 v86, 0xb08e, v30
	v_add_f16_e32 v81, v81, v83
	v_fma_f16 v83, v29, s5, v85
	v_add_f16_e32 v69, v69, v71
	v_fma_f16 v71, v29, s8, v73
	;; [unrolled: 2-line block ×4, first 2 shown]
	v_mul_f16_e32 v29, 0xba0c, v29
	v_add_f16_e32 v0, v32, v0
	v_fma_f16 v2, v24, s0, -v25
	v_fma_f16 v87, v34, s17, v86
	v_add_f16_e32 v81, v81, v83
	v_fma_f16 v83, v34, s6, v86
	v_add_f16_e32 v69, v69, v71
	;; [unrolled: 2-line block ×4, first 2 shown]
	v_fma_f16 v39, v28, s1, v29
	v_mul_f16_e32 v34, 0xb482, v34
	v_add_f16_e32 v0, v0, v2
	v_fma_f16 v2, v26, s3, -v27
	v_add_f16_e32 v38, v38, v39
	v_fma_f16 v39, v30, s2, v34
	v_add_f16_e32 v0, v0, v2
	v_fma_f16 v2, v28, s1, -v29
	v_add_f16_e32 v82, v82, v87
	v_mul_f16_e32 v87, 0xb482, v42
	v_add_f16_e32 v57, v57, v59
	v_fma_f16 v59, v35, s3, -v63
	v_add_f16_e32 v38, v38, v39
	v_mul_f16_e32 v39, 0xb853, v42
	v_add_f16_e32 v0, v0, v2
	v_fma_f16 v2, v30, s2, -v34
	v_fma_f16 v88, v35, s2, v87
	v_add_f16_e32 v81, v81, v83
	v_fma_f16 v83, v35, s2, -v87
	v_add_f16_e32 v69, v69, v71
	v_fma_f16 v71, v35, s1, -v75
	;; [unrolled: 2-line block ×3, first 2 shown]
	v_fma_f16 v40, v35, s4, -v39
	v_mul_f16_e32 v42, 0xbb47, v46
	v_add_f16_e32 v6, v0, v2
	v_fma_f16 v0, v35, s4, v39
	v_add_f16_e32 v88, v1, v88
	v_mul_f16_e32 v89, 0x3853, v46
	v_add_f16_e32 v83, v1, v83
	v_add_f16_e32 v71, v1, v71
	v_fma_f16 v72, v45, s3, -v77
	v_add_f16_e32 v59, v59, v60
	v_fma_f16 v60, v48, s0, -v66
	;; [unrolled: 2-line block ×3, first 2 shown]
	v_add_f16_e32 v0, v1, v0
	v_fma_f16 v1, v45, s0, v42
	v_fma_f16 v90, v45, s4, v89
	v_fma_f16 v84, v45, s4, -v89
	v_add_f16_e32 v71, v71, v72
	v_fma_f16 v72, v48, s4, -v78
	v_add_f16_e32 v59, v59, v60
	;; [unrolled: 2-line block ×3, first 2 shown]
	v_mul_f16_e32 v43, 0xbbeb, v49
	v_add_f16_e32 v2, v0, v1
	v_mad_u64_u32 v[0:1], s[4:5], s12, v10, 0
	v_add_f16_e32 v88, v88, v90
	v_mul_f16_e32 v90, 0xba0c, v49
	v_fma_f16 v46, v48, s3, -v43
	v_fma_f16 v91, v48, s1, v90
	v_add_f16_e32 v40, v40, v46
	v_mul_f16_e32 v46, 0xba0c, v52
	v_add_f16_e32 v88, v88, v91
	v_mul_f16_e32 v91, 0x3b47, v52
	v_add_f16_e32 v83, v83, v84
	v_fma_f16 v84, v48, s1, -v90
	v_add_f16_e32 v71, v71, v72
	v_fma_f16 v72, v51, s2, -v79
	v_fma_f16 v47, v51, s1, -v46
	v_fma_f16 v3, v48, s3, v43
	v_fma_f16 v92, v51, s0, v91
	v_add_f16_e32 v83, v83, v84
	v_fma_f16 v84, v51, s0, -v91
	v_add_f16_e32 v71, v71, v72
	v_fma_f16 v72, v54, s0, -v80
	;; [unrolled: 2-line block ×3, first 2 shown]
	v_add_f16_e32 v40, v40, v47
	v_mul_f16_e32 v47, 0xb482, v55
	v_add_f16_e32 v3, v2, v3
	v_fma_f16 v7, v51, s1, v46
	v_mad_u64_u32 v[1:2], s[0:1], s13, v10, v[1:2]
	v_add_f16_e32 v2, v3, v7
	v_fma_f16 v3, v54, s2, v47
	v_add_f16_e32 v7, v2, v3
	v_lshlrev_b64 v[2:3], 2, v[8:9]
	v_mov_b32_e32 v8, s15
	v_add_co_u32_e32 v9, vcc, s14, v2
	v_add_u32_e32 v11, 0x77, v10
	v_addc_co_u32_e32 v8, vcc, v8, v3, vcc
	v_mad_u64_u32 v[2:3], s[0:1], s12, v11, 0
	v_pack_b32_f16 v12, v4, v5
	v_lshlrev_b64 v[0:1], 2, v[0:1]
	v_mad_u64_u32 v[3:4], s[0:1], s13, v11, v[3:4]
	v_add_u32_e32 v11, 0xee, v10
	v_mad_u64_u32 v[4:5], s[0:1], s12, v11, 0
	v_add_co_u32_e32 v0, vcc, v9, v0
	v_addc_co_u32_e32 v1, vcc, v8, v1, vcc
	global_store_dword v[0:1], v12, off
	v_lshlrev_b64 v[0:1], 2, v[2:3]
	v_mov_b32_e32 v2, v5
	v_mad_u64_u32 v[2:3], s[0:1], s13, v11, v[2:3]
	v_fma_f16 v49, v54, s2, -v47
	v_add_f16_e32 v40, v40, v49
	v_add_co_u32_e32 v0, vcc, v9, v0
	v_addc_co_u32_e32 v1, vcc, v8, v1, vcc
	v_pack_b32_f16 v3, v40, v38
	v_mov_b32_e32 v5, v2
	global_store_dword v[0:1], v3, off
	v_lshlrev_b64 v[0:1], 2, v[4:5]
	v_add_u32_e32 v4, 0x165, v10
	v_mad_u64_u32 v[2:3], s[0:1], s12, v4, 0
	v_add_u32_e32 v12, 0x1dc, v10
	v_add_co_u32_e32 v0, vcc, v9, v0
	v_mad_u64_u32 v[3:4], s[0:1], s13, v4, v[3:4]
	v_mad_u64_u32 v[4:5], s[0:1], s12, v12, 0
	v_addc_co_u32_e32 v1, vcc, v8, v1, vcc
	v_pack_b32_f16 v11, v37, v36
	global_store_dword v[0:1], v11, off
	v_lshlrev_b64 v[0:1], 2, v[2:3]
	v_mov_b32_e32 v2, v5
	v_mad_u64_u32 v[2:3], s[0:1], s13, v12, v[2:3]
	v_add_f16_e32 v59, v59, v60
	v_add_co_u32_e32 v0, vcc, v9, v0
	v_addc_co_u32_e32 v1, vcc, v8, v1, vcc
	v_pack_b32_f16 v3, v59, v57
	v_mov_b32_e32 v5, v2
	global_store_dword v[0:1], v3, off
	v_lshlrev_b64 v[0:1], 2, v[4:5]
	v_add_u32_e32 v4, 0x253, v10
	v_mad_u64_u32 v[2:3], s[0:1], s12, v4, 0
	v_add_u32_e32 v12, 0x2ca, v10
	v_add_f16_e32 v71, v71, v72
	v_mad_u64_u32 v[3:4], s[0:1], s13, v4, v[3:4]
	v_mad_u64_u32 v[4:5], s[0:1], s12, v12, 0
	v_add_co_u32_e32 v0, vcc, v9, v0
	v_addc_co_u32_e32 v1, vcc, v8, v1, vcc
	v_pack_b32_f16 v11, v71, v69
	global_store_dword v[0:1], v11, off
	v_lshlrev_b64 v[0:1], 2, v[2:3]
	v_mov_b32_e32 v2, v5
	v_mad_u64_u32 v[2:3], s[0:1], s13, v12, v[2:3]
	v_add_f16_e32 v88, v88, v92
	v_mul_f16_e32 v92, 0xbbeb, v55
	v_add_f16_e32 v83, v83, v84
	v_fma_f16 v84, v54, s3, -v92
	v_add_f16_e32 v83, v83, v84
	v_add_co_u32_e32 v0, vcc, v9, v0
	v_addc_co_u32_e32 v1, vcc, v8, v1, vcc
	v_pack_b32_f16 v3, v83, v81
	v_mov_b32_e32 v5, v2
	global_store_dword v[0:1], v3, off
	v_lshlrev_b64 v[0:1], 2, v[4:5]
	v_add_u32_e32 v4, 0x341, v10
	v_mad_u64_u32 v[2:3], s[0:1], s12, v4, 0
	v_add_u32_e32 v12, 0x3b8, v10
	v_fma_f16 v93, v54, s3, v92
	v_mad_u64_u32 v[3:4], s[0:1], s13, v4, v[3:4]
	v_mad_u64_u32 v[4:5], s[0:1], s12, v12, 0
	v_add_f16_e32 v88, v88, v93
	v_add_co_u32_e32 v0, vcc, v9, v0
	v_addc_co_u32_e32 v1, vcc, v8, v1, vcc
	v_pack_b32_f16 v11, v88, v82
	global_store_dword v[0:1], v11, off
	v_lshlrev_b64 v[0:1], 2, v[2:3]
	v_mov_b32_e32 v2, v5
	v_mad_u64_u32 v[2:3], s[0:1], s13, v12, v[2:3]
	v_add_co_u32_e32 v0, vcc, v9, v0
	v_addc_co_u32_e32 v1, vcc, v8, v1, vcc
	v_pack_b32_f16 v3, v76, v70
	v_mov_b32_e32 v5, v2
	global_store_dword v[0:1], v3, off
	v_lshlrev_b64 v[0:1], 2, v[4:5]
	v_add_u32_e32 v4, 0x42f, v10
	v_mad_u64_u32 v[2:3], s[0:1], s12, v4, 0
	v_add_u32_e32 v10, 0x4a6, v10
	v_add_co_u32_e32 v0, vcc, v9, v0
	v_mad_u64_u32 v[3:4], s[0:1], s13, v4, v[3:4]
	v_mad_u64_u32 v[4:5], s[0:1], s12, v10, 0
	v_addc_co_u32_e32 v1, vcc, v8, v1, vcc
	v_pack_b32_f16 v11, v64, v58
	global_store_dword v[0:1], v11, off
	v_lshlrev_b64 v[0:1], 2, v[2:3]
	v_mov_b32_e32 v2, v5
	v_mad_u64_u32 v[2:3], s[0:1], s13, v10, v[2:3]
	v_add_co_u32_e32 v0, vcc, v9, v0
	v_addc_co_u32_e32 v1, vcc, v8, v1, vcc
	v_pack_b32_f16 v3, v44, v41
	v_mov_b32_e32 v5, v2
	global_store_dword v[0:1], v3, off
	v_lshlrev_b64 v[0:1], 2, v[4:5]
	v_pack_b32_f16 v2, v7, v6
	v_add_co_u32_e32 v0, vcc, v9, v0
	v_addc_co_u32_e32 v1, vcc, v8, v1, vcc
	global_store_dword v[0:1], v2, off
.LBB0_27:
	s_endpgm
	.section	.rodata,"a",@progbits
	.p2align	6, 0x0
	.amdhsa_kernel fft_rtc_fwd_len1309_factors_17_7_11_wgs_119_tpt_119_halfLds_half_ip_CI_sbrr_dirReg
		.amdhsa_group_segment_fixed_size 0
		.amdhsa_private_segment_fixed_size 0
		.amdhsa_kernarg_size 88
		.amdhsa_user_sgpr_count 6
		.amdhsa_user_sgpr_private_segment_buffer 1
		.amdhsa_user_sgpr_dispatch_ptr 0
		.amdhsa_user_sgpr_queue_ptr 0
		.amdhsa_user_sgpr_kernarg_segment_ptr 1
		.amdhsa_user_sgpr_dispatch_id 0
		.amdhsa_user_sgpr_flat_scratch_init 0
		.amdhsa_user_sgpr_private_segment_size 0
		.amdhsa_uses_dynamic_stack 0
		.amdhsa_system_sgpr_private_segment_wavefront_offset 0
		.amdhsa_system_sgpr_workgroup_id_x 1
		.amdhsa_system_sgpr_workgroup_id_y 0
		.amdhsa_system_sgpr_workgroup_id_z 0
		.amdhsa_system_sgpr_workgroup_info 0
		.amdhsa_system_vgpr_workitem_id 0
		.amdhsa_next_free_vgpr 118
		.amdhsa_next_free_sgpr 24
		.amdhsa_reserve_vcc 1
		.amdhsa_reserve_flat_scratch 0
		.amdhsa_float_round_mode_32 0
		.amdhsa_float_round_mode_16_64 0
		.amdhsa_float_denorm_mode_32 3
		.amdhsa_float_denorm_mode_16_64 3
		.amdhsa_dx10_clamp 1
		.amdhsa_ieee_mode 1
		.amdhsa_fp16_overflow 0
		.amdhsa_exception_fp_ieee_invalid_op 0
		.amdhsa_exception_fp_denorm_src 0
		.amdhsa_exception_fp_ieee_div_zero 0
		.amdhsa_exception_fp_ieee_overflow 0
		.amdhsa_exception_fp_ieee_underflow 0
		.amdhsa_exception_fp_ieee_inexact 0
		.amdhsa_exception_int_div_zero 0
	.end_amdhsa_kernel
	.text
.Lfunc_end0:
	.size	fft_rtc_fwd_len1309_factors_17_7_11_wgs_119_tpt_119_halfLds_half_ip_CI_sbrr_dirReg, .Lfunc_end0-fft_rtc_fwd_len1309_factors_17_7_11_wgs_119_tpt_119_halfLds_half_ip_CI_sbrr_dirReg
                                        ; -- End function
	.section	.AMDGPU.csdata,"",@progbits
; Kernel info:
; codeLenInByte = 13652
; NumSgprs: 28
; NumVgprs: 118
; ScratchSize: 0
; MemoryBound: 0
; FloatMode: 240
; IeeeMode: 1
; LDSByteSize: 0 bytes/workgroup (compile time only)
; SGPRBlocks: 3
; VGPRBlocks: 29
; NumSGPRsForWavesPerEU: 28
; NumVGPRsForWavesPerEU: 118
; Occupancy: 2
; WaveLimiterHint : 1
; COMPUTE_PGM_RSRC2:SCRATCH_EN: 0
; COMPUTE_PGM_RSRC2:USER_SGPR: 6
; COMPUTE_PGM_RSRC2:TRAP_HANDLER: 0
; COMPUTE_PGM_RSRC2:TGID_X_EN: 1
; COMPUTE_PGM_RSRC2:TGID_Y_EN: 0
; COMPUTE_PGM_RSRC2:TGID_Z_EN: 0
; COMPUTE_PGM_RSRC2:TIDIG_COMP_CNT: 0
	.type	__hip_cuid_72ed7d6fd810f25f,@object ; @__hip_cuid_72ed7d6fd810f25f
	.section	.bss,"aw",@nobits
	.globl	__hip_cuid_72ed7d6fd810f25f
__hip_cuid_72ed7d6fd810f25f:
	.byte	0                               ; 0x0
	.size	__hip_cuid_72ed7d6fd810f25f, 1

	.ident	"AMD clang version 19.0.0git (https://github.com/RadeonOpenCompute/llvm-project roc-6.4.0 25133 c7fe45cf4b819c5991fe208aaa96edf142730f1d)"
	.section	".note.GNU-stack","",@progbits
	.addrsig
	.addrsig_sym __hip_cuid_72ed7d6fd810f25f
	.amdgpu_metadata
---
amdhsa.kernels:
  - .args:
      - .actual_access:  read_only
        .address_space:  global
        .offset:         0
        .size:           8
        .value_kind:     global_buffer
      - .offset:         8
        .size:           8
        .value_kind:     by_value
      - .actual_access:  read_only
        .address_space:  global
        .offset:         16
        .size:           8
        .value_kind:     global_buffer
      - .actual_access:  read_only
        .address_space:  global
        .offset:         24
        .size:           8
        .value_kind:     global_buffer
      - .offset:         32
        .size:           8
        .value_kind:     by_value
      - .actual_access:  read_only
        .address_space:  global
        .offset:         40
        .size:           8
        .value_kind:     global_buffer
      - .actual_access:  read_only
        .address_space:  global
        .offset:         48
        .size:           8
        .value_kind:     global_buffer
      - .offset:         56
        .size:           4
        .value_kind:     by_value
      - .actual_access:  read_only
        .address_space:  global
        .offset:         64
        .size:           8
        .value_kind:     global_buffer
      - .actual_access:  read_only
        .address_space:  global
        .offset:         72
        .size:           8
        .value_kind:     global_buffer
      - .address_space:  global
        .offset:         80
        .size:           8
        .value_kind:     global_buffer
    .group_segment_fixed_size: 0
    .kernarg_segment_align: 8
    .kernarg_segment_size: 88
    .language:       OpenCL C
    .language_version:
      - 2
      - 0
    .max_flat_workgroup_size: 119
    .name:           fft_rtc_fwd_len1309_factors_17_7_11_wgs_119_tpt_119_halfLds_half_ip_CI_sbrr_dirReg
    .private_segment_fixed_size: 0
    .sgpr_count:     28
    .sgpr_spill_count: 0
    .symbol:         fft_rtc_fwd_len1309_factors_17_7_11_wgs_119_tpt_119_halfLds_half_ip_CI_sbrr_dirReg.kd
    .uniform_work_group_size: 1
    .uses_dynamic_stack: false
    .vgpr_count:     118
    .vgpr_spill_count: 0
    .wavefront_size: 64
amdhsa.target:   amdgcn-amd-amdhsa--gfx906
amdhsa.version:
  - 1
  - 2
...

	.end_amdgpu_metadata
